;; amdgpu-corpus repo=ROCm/rocFFT kind=compiled arch=gfx1201 opt=O3
	.text
	.amdgcn_target "amdgcn-amd-amdhsa--gfx1201"
	.amdhsa_code_object_version 6
	.protected	fft_rtc_back_len864_factors_3_6_16_3_wgs_54_tpt_54_halfLds_dp_ip_CI_sbrr_dirReg ; -- Begin function fft_rtc_back_len864_factors_3_6_16_3_wgs_54_tpt_54_halfLds_dp_ip_CI_sbrr_dirReg
	.globl	fft_rtc_back_len864_factors_3_6_16_3_wgs_54_tpt_54_halfLds_dp_ip_CI_sbrr_dirReg
	.p2align	8
	.type	fft_rtc_back_len864_factors_3_6_16_3_wgs_54_tpt_54_halfLds_dp_ip_CI_sbrr_dirReg,@function
fft_rtc_back_len864_factors_3_6_16_3_wgs_54_tpt_54_halfLds_dp_ip_CI_sbrr_dirReg: ; @fft_rtc_back_len864_factors_3_6_16_3_wgs_54_tpt_54_halfLds_dp_ip_CI_sbrr_dirReg
; %bb.0:
	s_clause 0x2
	s_load_b64 s[12:13], s[0:1], 0x18
	s_load_b128 s[4:7], s[0:1], 0x0
	s_load_b64 s[10:11], s[0:1], 0x50
	v_mul_u32_u24_e32 v1, 0x4be, v0
	v_mov_b32_e32 v3, 0
	s_delay_alu instid0(VALU_DEP_2) | instskip(NEXT) | instid1(VALU_DEP_1)
	v_lshrrev_b32_e32 v1, 16, v1
	v_add_nc_u32_e32 v5, ttmp9, v1
	v_mov_b32_e32 v1, 0
	v_mov_b32_e32 v2, 0
	;; [unrolled: 1-line block ×3, first 2 shown]
	s_wait_kmcnt 0x0
	s_load_b64 s[8:9], s[12:13], 0x0
	v_cmp_lt_u64_e64 s2, s[6:7], 2
	s_delay_alu instid0(VALU_DEP_1)
	s_and_b32 vcc_lo, exec_lo, s2
	s_cbranch_vccnz .LBB0_8
; %bb.1:
	s_load_b64 s[2:3], s[0:1], 0x10
	v_mov_b32_e32 v1, 0
	v_mov_b32_e32 v2, 0
	s_add_nc_u64 s[14:15], s[12:13], 8
	s_mov_b64 s[16:17], 1
	s_wait_kmcnt 0x0
	s_add_nc_u64 s[18:19], s[2:3], 8
	s_mov_b32 s3, 0
.LBB0_2:                                ; =>This Inner Loop Header: Depth=1
	s_load_b64 s[20:21], s[18:19], 0x0
                                        ; implicit-def: $vgpr7_vgpr8
	s_mov_b32 s2, exec_lo
	s_wait_kmcnt 0x0
	v_or_b32_e32 v4, s21, v6
	s_delay_alu instid0(VALU_DEP_1)
	v_cmpx_ne_u64_e32 0, v[3:4]
	s_wait_alu 0xfffe
	s_xor_b32 s22, exec_lo, s2
	s_cbranch_execz .LBB0_4
; %bb.3:                                ;   in Loop: Header=BB0_2 Depth=1
	s_cvt_f32_u32 s2, s20
	s_cvt_f32_u32 s23, s21
	s_sub_nc_u64 s[26:27], 0, s[20:21]
	s_wait_alu 0xfffe
	s_delay_alu instid0(SALU_CYCLE_1) | instskip(SKIP_1) | instid1(SALU_CYCLE_2)
	s_fmamk_f32 s2, s23, 0x4f800000, s2
	s_wait_alu 0xfffe
	v_s_rcp_f32 s2, s2
	s_delay_alu instid0(TRANS32_DEP_1) | instskip(SKIP_1) | instid1(SALU_CYCLE_2)
	s_mul_f32 s2, s2, 0x5f7ffffc
	s_wait_alu 0xfffe
	s_mul_f32 s23, s2, 0x2f800000
	s_wait_alu 0xfffe
	s_delay_alu instid0(SALU_CYCLE_2) | instskip(SKIP_1) | instid1(SALU_CYCLE_2)
	s_trunc_f32 s23, s23
	s_wait_alu 0xfffe
	s_fmamk_f32 s2, s23, 0xcf800000, s2
	s_cvt_u32_f32 s25, s23
	s_wait_alu 0xfffe
	s_delay_alu instid0(SALU_CYCLE_1) | instskip(SKIP_1) | instid1(SALU_CYCLE_2)
	s_cvt_u32_f32 s24, s2
	s_wait_alu 0xfffe
	s_mul_u64 s[28:29], s[26:27], s[24:25]
	s_wait_alu 0xfffe
	s_mul_hi_u32 s31, s24, s29
	s_mul_i32 s30, s24, s29
	s_mul_hi_u32 s2, s24, s28
	s_mul_i32 s33, s25, s28
	s_wait_alu 0xfffe
	s_add_nc_u64 s[30:31], s[2:3], s[30:31]
	s_mul_hi_u32 s23, s25, s28
	s_mul_hi_u32 s34, s25, s29
	s_add_co_u32 s2, s30, s33
	s_wait_alu 0xfffe
	s_add_co_ci_u32 s2, s31, s23
	s_mul_i32 s28, s25, s29
	s_add_co_ci_u32 s29, s34, 0
	s_wait_alu 0xfffe
	s_add_nc_u64 s[28:29], s[2:3], s[28:29]
	s_wait_alu 0xfffe
	v_add_co_u32 v4, s2, s24, s28
	s_delay_alu instid0(VALU_DEP_1) | instskip(SKIP_1) | instid1(VALU_DEP_1)
	s_cmp_lg_u32 s2, 0
	s_add_co_ci_u32 s25, s25, s29
	v_readfirstlane_b32 s24, v4
	s_wait_alu 0xfffe
	s_delay_alu instid0(VALU_DEP_1)
	s_mul_u64 s[26:27], s[26:27], s[24:25]
	s_wait_alu 0xfffe
	s_mul_hi_u32 s29, s24, s27
	s_mul_i32 s28, s24, s27
	s_mul_hi_u32 s2, s24, s26
	s_mul_i32 s30, s25, s26
	s_wait_alu 0xfffe
	s_add_nc_u64 s[28:29], s[2:3], s[28:29]
	s_mul_hi_u32 s23, s25, s26
	s_mul_hi_u32 s24, s25, s27
	s_wait_alu 0xfffe
	s_add_co_u32 s2, s28, s30
	s_add_co_ci_u32 s2, s29, s23
	s_mul_i32 s26, s25, s27
	s_add_co_ci_u32 s27, s24, 0
	s_wait_alu 0xfffe
	s_add_nc_u64 s[26:27], s[2:3], s[26:27]
	s_wait_alu 0xfffe
	v_add_co_u32 v4, s2, v4, s26
	s_delay_alu instid0(VALU_DEP_1) | instskip(SKIP_1) | instid1(VALU_DEP_1)
	s_cmp_lg_u32 s2, 0
	s_add_co_ci_u32 s2, s25, s27
	v_mul_hi_u32 v13, v5, v4
	s_wait_alu 0xfffe
	v_mad_co_u64_u32 v[7:8], null, v5, s2, 0
	v_mad_co_u64_u32 v[9:10], null, v6, v4, 0
	;; [unrolled: 1-line block ×3, first 2 shown]
	s_delay_alu instid0(VALU_DEP_3) | instskip(SKIP_1) | instid1(VALU_DEP_4)
	v_add_co_u32 v4, vcc_lo, v13, v7
	s_wait_alu 0xfffd
	v_add_co_ci_u32_e32 v7, vcc_lo, 0, v8, vcc_lo
	s_delay_alu instid0(VALU_DEP_2) | instskip(SKIP_1) | instid1(VALU_DEP_2)
	v_add_co_u32 v4, vcc_lo, v4, v9
	s_wait_alu 0xfffd
	v_add_co_ci_u32_e32 v4, vcc_lo, v7, v10, vcc_lo
	s_wait_alu 0xfffd
	v_add_co_ci_u32_e32 v7, vcc_lo, 0, v12, vcc_lo
	s_delay_alu instid0(VALU_DEP_2) | instskip(SKIP_1) | instid1(VALU_DEP_2)
	v_add_co_u32 v4, vcc_lo, v4, v11
	s_wait_alu 0xfffd
	v_add_co_ci_u32_e32 v9, vcc_lo, 0, v7, vcc_lo
	s_delay_alu instid0(VALU_DEP_2) | instskip(SKIP_1) | instid1(VALU_DEP_3)
	v_mul_lo_u32 v10, s21, v4
	v_mad_co_u64_u32 v[7:8], null, s20, v4, 0
	v_mul_lo_u32 v11, s20, v9
	s_delay_alu instid0(VALU_DEP_2) | instskip(NEXT) | instid1(VALU_DEP_2)
	v_sub_co_u32 v7, vcc_lo, v5, v7
	v_add3_u32 v8, v8, v11, v10
	s_delay_alu instid0(VALU_DEP_1) | instskip(SKIP_1) | instid1(VALU_DEP_1)
	v_sub_nc_u32_e32 v10, v6, v8
	s_wait_alu 0xfffd
	v_subrev_co_ci_u32_e64 v10, s2, s21, v10, vcc_lo
	v_add_co_u32 v11, s2, v4, 2
	s_wait_alu 0xf1ff
	v_add_co_ci_u32_e64 v12, s2, 0, v9, s2
	v_sub_co_u32 v13, s2, v7, s20
	v_sub_co_ci_u32_e32 v8, vcc_lo, v6, v8, vcc_lo
	s_wait_alu 0xf1ff
	v_subrev_co_ci_u32_e64 v10, s2, 0, v10, s2
	s_delay_alu instid0(VALU_DEP_3) | instskip(NEXT) | instid1(VALU_DEP_3)
	v_cmp_le_u32_e32 vcc_lo, s20, v13
	v_cmp_eq_u32_e64 s2, s21, v8
	s_wait_alu 0xfffd
	v_cndmask_b32_e64 v13, 0, -1, vcc_lo
	v_cmp_le_u32_e32 vcc_lo, s21, v10
	s_wait_alu 0xfffd
	v_cndmask_b32_e64 v14, 0, -1, vcc_lo
	v_cmp_le_u32_e32 vcc_lo, s20, v7
	;; [unrolled: 3-line block ×3, first 2 shown]
	s_wait_alu 0xfffd
	v_cndmask_b32_e64 v15, 0, -1, vcc_lo
	v_cmp_eq_u32_e32 vcc_lo, s21, v10
	s_wait_alu 0xf1ff
	s_delay_alu instid0(VALU_DEP_2)
	v_cndmask_b32_e64 v7, v15, v7, s2
	s_wait_alu 0xfffd
	v_cndmask_b32_e32 v10, v14, v13, vcc_lo
	v_add_co_u32 v13, vcc_lo, v4, 1
	s_wait_alu 0xfffd
	v_add_co_ci_u32_e32 v14, vcc_lo, 0, v9, vcc_lo
	s_delay_alu instid0(VALU_DEP_3) | instskip(SKIP_2) | instid1(VALU_DEP_3)
	v_cmp_ne_u32_e32 vcc_lo, 0, v10
	s_wait_alu 0xfffd
	v_cndmask_b32_e32 v10, v13, v11, vcc_lo
	v_cndmask_b32_e32 v8, v14, v12, vcc_lo
	v_cmp_ne_u32_e32 vcc_lo, 0, v7
	s_wait_alu 0xfffd
	s_delay_alu instid0(VALU_DEP_2)
	v_dual_cndmask_b32 v7, v4, v10 :: v_dual_cndmask_b32 v8, v9, v8
.LBB0_4:                                ;   in Loop: Header=BB0_2 Depth=1
	s_wait_alu 0xfffe
	s_and_not1_saveexec_b32 s2, s22
	s_cbranch_execz .LBB0_6
; %bb.5:                                ;   in Loop: Header=BB0_2 Depth=1
	v_cvt_f32_u32_e32 v4, s20
	s_sub_co_i32 s22, 0, s20
	s_delay_alu instid0(VALU_DEP_1) | instskip(NEXT) | instid1(TRANS32_DEP_1)
	v_rcp_iflag_f32_e32 v4, v4
	v_mul_f32_e32 v4, 0x4f7ffffe, v4
	s_delay_alu instid0(VALU_DEP_1) | instskip(SKIP_1) | instid1(VALU_DEP_1)
	v_cvt_u32_f32_e32 v4, v4
	s_wait_alu 0xfffe
	v_mul_lo_u32 v7, s22, v4
	s_delay_alu instid0(VALU_DEP_1) | instskip(NEXT) | instid1(VALU_DEP_1)
	v_mul_hi_u32 v7, v4, v7
	v_add_nc_u32_e32 v4, v4, v7
	s_delay_alu instid0(VALU_DEP_1) | instskip(NEXT) | instid1(VALU_DEP_1)
	v_mul_hi_u32 v4, v5, v4
	v_mul_lo_u32 v7, v4, s20
	v_add_nc_u32_e32 v8, 1, v4
	s_delay_alu instid0(VALU_DEP_2) | instskip(NEXT) | instid1(VALU_DEP_1)
	v_sub_nc_u32_e32 v7, v5, v7
	v_subrev_nc_u32_e32 v9, s20, v7
	v_cmp_le_u32_e32 vcc_lo, s20, v7
	s_wait_alu 0xfffd
	s_delay_alu instid0(VALU_DEP_2) | instskip(NEXT) | instid1(VALU_DEP_1)
	v_dual_cndmask_b32 v7, v7, v9 :: v_dual_cndmask_b32 v4, v4, v8
	v_cmp_le_u32_e32 vcc_lo, s20, v7
	s_delay_alu instid0(VALU_DEP_2) | instskip(SKIP_1) | instid1(VALU_DEP_1)
	v_add_nc_u32_e32 v8, 1, v4
	s_wait_alu 0xfffd
	v_dual_cndmask_b32 v7, v4, v8 :: v_dual_mov_b32 v8, v3
.LBB0_6:                                ;   in Loop: Header=BB0_2 Depth=1
	s_wait_alu 0xfffe
	s_or_b32 exec_lo, exec_lo, s2
	s_load_b64 s[22:23], s[14:15], 0x0
	s_delay_alu instid0(VALU_DEP_1)
	v_mul_lo_u32 v4, v8, s20
	v_mul_lo_u32 v11, v7, s21
	v_mad_co_u64_u32 v[9:10], null, v7, s20, 0
	s_add_nc_u64 s[16:17], s[16:17], 1
	s_add_nc_u64 s[14:15], s[14:15], 8
	s_wait_alu 0xfffe
	v_cmp_ge_u64_e64 s2, s[16:17], s[6:7]
	s_add_nc_u64 s[18:19], s[18:19], 8
	s_delay_alu instid0(VALU_DEP_2) | instskip(NEXT) | instid1(VALU_DEP_3)
	v_add3_u32 v4, v10, v11, v4
	v_sub_co_u32 v5, vcc_lo, v5, v9
	s_wait_alu 0xfffd
	s_delay_alu instid0(VALU_DEP_2) | instskip(SKIP_3) | instid1(VALU_DEP_2)
	v_sub_co_ci_u32_e32 v4, vcc_lo, v6, v4, vcc_lo
	s_and_b32 vcc_lo, exec_lo, s2
	s_wait_kmcnt 0x0
	v_mul_lo_u32 v6, s23, v5
	v_mul_lo_u32 v4, s22, v4
	v_mad_co_u64_u32 v[1:2], null, s22, v5, v[1:2]
	s_delay_alu instid0(VALU_DEP_1)
	v_add3_u32 v2, v6, v2, v4
	s_wait_alu 0xfffe
	s_cbranch_vccnz .LBB0_9
; %bb.7:                                ;   in Loop: Header=BB0_2 Depth=1
	v_dual_mov_b32 v5, v7 :: v_dual_mov_b32 v6, v8
	s_branch .LBB0_2
.LBB0_8:
	v_dual_mov_b32 v8, v6 :: v_dual_mov_b32 v7, v5
.LBB0_9:
	s_lshl_b64 s[2:3], s[6:7], 3
	v_mul_hi_u32 v3, 0x4bda130, v0
	s_wait_alu 0xfffe
	s_add_nc_u64 s[2:3], s[12:13], s[2:3]
	s_load_b64 s[0:1], s[0:1], 0x20
	s_load_b64 s[2:3], s[2:3], 0x0
                                        ; implicit-def: $vgpr118
                                        ; implicit-def: $vgpr119
                                        ; implicit-def: $vgpr120
                                        ; implicit-def: $vgpr121
	s_delay_alu instid0(VALU_DEP_1) | instskip(NEXT) | instid1(VALU_DEP_1)
	v_mul_u32_u24_e32 v3, 54, v3
	v_sub_nc_u32_e32 v104, v0, v3
	s_delay_alu instid0(VALU_DEP_1)
	v_add_nc_u32_e32 v108, 54, v104
	v_add_nc_u32_e32 v106, 0x6c, v104
	;; [unrolled: 1-line block ×4, first 2 shown]
	s_wait_kmcnt 0x0
	v_cmp_gt_u64_e32 vcc_lo, s[0:1], v[7:8]
	v_mul_lo_u32 v3, s2, v8
	v_mul_lo_u32 v4, s3, v7
	v_mad_co_u64_u32 v[0:1], null, s2, v7, v[1:2]
	v_cmp_le_u64_e64 s0, s[0:1], v[7:8]
	s_delay_alu instid0(VALU_DEP_2) | instskip(NEXT) | instid1(VALU_DEP_2)
	v_add3_u32 v1, v4, v1, v3
	s_and_saveexec_b32 s1, s0
	s_wait_alu 0xfffe
	s_xor_b32 s0, exec_lo, s1
; %bb.10:
	v_add_nc_u32_e32 v118, 54, v104
	v_add_nc_u32_e32 v119, 0x6c, v104
	;; [unrolled: 1-line block ×4, first 2 shown]
; %bb.11:
	s_wait_alu 0xfffe
	s_or_saveexec_b32 s1, s0
	v_lshlrev_b64_e32 v[98:99], 4, v[0:1]
	v_add_nc_u32_e32 v115, 0x120, v104
	v_or_b32_e32 v116, 0x240, v104
	v_add_nc_u32_e32 v113, 0x156, v104
	v_add_nc_u32_e32 v114, 0x276, v104
	;; [unrolled: 1-line block ×6, first 2 shown]
                                        ; implicit-def: $vgpr2_vgpr3
                                        ; implicit-def: $vgpr10_vgpr11
                                        ; implicit-def: $vgpr14_vgpr15
                                        ; implicit-def: $vgpr30_vgpr31
                                        ; implicit-def: $vgpr26_vgpr27
                                        ; implicit-def: $vgpr34_vgpr35
                                        ; implicit-def: $vgpr60_vgpr61
                                        ; implicit-def: $vgpr76_vgpr77
                                        ; implicit-def: $vgpr68_vgpr69
                                        ; implicit-def: $vgpr80_vgpr81
                                        ; implicit-def: $vgpr84_vgpr85
                                        ; implicit-def: $vgpr72_vgpr73
                                        ; implicit-def: $vgpr88_vgpr89
                                        ; implicit-def: $vgpr96_vgpr97
                                        ; implicit-def: $vgpr92_vgpr93
                                        ; implicit-def: $vgpr64_vgpr65
                                        ; implicit-def: $vgpr40_vgpr41
                                        ; implicit-def: $vgpr6_vgpr7
	s_wait_alu 0xfffe
	s_xor_b32 exec_lo, exec_lo, s1
	s_cbranch_execz .LBB0_15
; %bb.12:
	v_mad_co_u64_u32 v[0:1], null, s8, v104, 0
	v_mad_co_u64_u32 v[2:3], null, s8, v115, 0
	;; [unrolled: 1-line block ×5, first 2 shown]
	s_delay_alu instid0(VALU_DEP_4) | instskip(SKIP_4) | instid1(VALU_DEP_4)
	v_mad_co_u64_u32 v[4:5], null, s9, v104, v[1:2]
	v_add_co_u32 v16, s0, s10, v98
	v_mad_co_u64_u32 v[32:33], null, s8, v112, 0
	s_wait_alu 0xf1ff
	v_add_co_ci_u32_e64 v17, s0, s11, v99, s0
	v_mad_co_u64_u32 v[5:6], null, s9, v115, v[3:4]
	v_dual_mov_b32 v1, v4 :: v_dual_mov_b32 v4, v9
	v_mad_co_u64_u32 v[20:21], null, s8, v114, 0
	v_mad_co_u64_u32 v[36:37], null, s8, v105, 0
	s_delay_alu instid0(VALU_DEP_4) | instskip(SKIP_4) | instid1(VALU_DEP_4)
	v_mov_b32_e32 v3, v5
	v_mov_b32_e32 v5, v11
	v_lshlrev_b64_e32 v[0:1], 4, v[0:1]
	v_mad_co_u64_u32 v[22:23], null, s8, v106, 0
	v_mad_co_u64_u32 v[42:43], null, s8, v109, 0
	;; [unrolled: 1-line block ×3, first 2 shown]
	s_delay_alu instid0(VALU_DEP_4) | instskip(SKIP_3) | instid1(VALU_DEP_4)
	v_add_co_u32 v0, s0, v16, v0
	s_wait_alu 0xf1ff
	v_add_co_ci_u32_e64 v1, s0, v17, v1, s0
	v_mad_co_u64_u32 v[44:45], null, s8, v110, 0
	v_mad_co_u64_u32 v[11:12], null, s9, v108, v[5:6]
	v_dual_mov_b32 v9, v6 :: v_dual_mov_b32 v12, v19
	v_lshlrev_b64_e32 v[2:3], 4, v[2:3]
	v_mad_co_u64_u32 v[46:47], null, s8, v107, 0
	s_delay_alu instid0(VALU_DEP_3)
	v_lshlrev_b64_e32 v[8:9], 4, v[8:9]
	v_lshlrev_b64_e32 v[10:11], 4, v[10:11]
	v_mad_co_u64_u32 v[12:13], null, s9, v113, v[12:13]
	v_add_co_u32 v2, s0, v16, v2
	s_wait_alu 0xf1ff
	v_add_co_ci_u32_e64 v3, s0, v17, v3, s0
	v_add_co_u32 v8, s0, v16, v8
	s_wait_alu 0xf1ff
	v_add_co_ci_u32_e64 v9, s0, v17, v9, s0
	v_mov_b32_e32 v13, v21
	v_add_co_u32 v14, s0, v16, v10
	v_dual_mov_b32 v19, v12 :: v_dual_add_nc_u32 v50, 0x1f8, v104
	s_wait_alu 0xf1ff
	v_add_co_ci_u32_e64 v15, s0, v17, v11, s0
	s_delay_alu instid0(VALU_DEP_3)
	v_mad_co_u64_u32 v[24:25], null, s9, v114, v[13:14]
	v_mad_co_u64_u32 v[25:26], null, s8, v111, 0
	v_lshlrev_b64_e32 v[18:19], 4, v[18:19]
	s_clause 0x3
	global_load_b128 v[4:7], v[0:1], off
	global_load_b128 v[0:3], v[2:3], off
	;; [unrolled: 1-line block ×4, first 2 shown]
	v_add_nc_u32_e32 v51, 0x318, v104
	v_mov_b32_e32 v21, v24
	v_mad_co_u64_u32 v[23:24], null, s9, v106, v[23:24]
	v_mov_b32_e32 v24, v26
	v_add_co_u32 v18, s0, v16, v18
	s_delay_alu instid0(VALU_DEP_4)
	v_lshlrev_b64_e32 v[20:21], 4, v[20:21]
	s_wait_alu 0xf1ff
	v_add_co_ci_u32_e64 v19, s0, v17, v19, s0
	v_mad_co_u64_u32 v[26:27], null, s9, v111, v[24:25]
	v_mov_b32_e32 v24, v33
	v_lshlrev_b64_e32 v[22:23], 4, v[22:23]
	v_add_co_u32 v20, s0, v16, v20
	s_wait_alu 0xf1ff
	v_add_co_ci_u32_e64 v21, s0, v17, v21, s0
	v_mad_co_u64_u32 v[27:28], null, s9, v112, v[24:25]
	v_lshlrev_b64_e32 v[25:26], 4, v[25:26]
	v_mov_b32_e32 v24, v37
	v_add_co_u32 v22, s0, v16, v22
	s_wait_alu 0xf1ff
	v_add_co_ci_u32_e64 v23, s0, v17, v23, s0
	s_delay_alu instid0(VALU_DEP_4)
	v_add_co_u32 v34, s0, v16, v25
	v_mov_b32_e32 v33, v27
	v_mad_co_u64_u32 v[37:38], null, s9, v105, v[24:25]
	s_wait_alu 0xf1ff
	v_add_co_ci_u32_e64 v35, s0, v17, v26, s0
	s_clause 0x1
	global_load_b128 v[28:31], v[18:19], off
	global_load_b128 v[24:27], v[20:21], off
	v_lshlrev_b64_e32 v[18:19], 4, v[32:33]
	s_clause 0x1
	global_load_b128 v[38:41], v[22:23], off
	global_load_b128 v[32:35], v[34:35], off
	v_mov_b32_e32 v20, v43
	v_lshlrev_b64_e32 v[21:22], 4, v[36:37]
	v_mov_b32_e32 v23, v47
	s_mov_b32 s2, exec_lo
	v_add_co_u32 v18, s0, v16, v18
	s_wait_alu 0xf1ff
	v_add_co_ci_u32_e64 v19, s0, v17, v19, s0
	v_mad_co_u64_u32 v[36:37], null, s9, v109, v[20:21]
	v_add_co_u32 v20, s0, v16, v21
	s_wait_alu 0xf1ff
	v_add_co_ci_u32_e64 v21, s0, v17, v22, s0
	v_mov_b32_e32 v22, v45
	s_clause 0x1
	global_load_b128 v[58:61], v[18:19], off
	global_load_b128 v[62:65], v[20:21], off
	v_mov_b32_e32 v43, v36
	v_mad_co_u64_u32 v[36:37], null, s8, v50, 0
	v_mad_co_u64_u32 v[47:48], null, s9, v110, v[22:23]
	v_mad_co_u64_u32 v[48:49], null, s8, v51, 0
                                        ; implicit-def: $vgpr90_vgpr91
                                        ; implicit-def: $vgpr94_vgpr95
                                        ; implicit-def: $vgpr86_vgpr87
	s_delay_alu instid0(VALU_DEP_3) | instskip(SKIP_1) | instid1(VALU_DEP_4)
	v_mov_b32_e32 v18, v37
	v_lshlrev_b64_e32 v[19:20], 4, v[42:43]
	v_mov_b32_e32 v45, v47
	s_wait_loadcnt 0x4
	v_mad_co_u64_u32 v[22:23], null, s9, v107, v[23:24]
	s_delay_alu instid0(VALU_DEP_1) | instskip(NEXT) | instid1(VALU_DEP_4)
	v_mov_b32_e32 v47, v22
	v_mad_co_u64_u32 v[21:22], null, s9, v50, v[18:19]
	v_mov_b32_e32 v18, v49
	v_add_co_u32 v19, s0, v16, v19
	v_lshlrev_b64_e32 v[22:23], 4, v[44:45]
	s_wait_alu 0xf1ff
	v_add_co_ci_u32_e64 v20, s0, v17, v20, s0
	s_delay_alu instid0(VALU_DEP_3)
	v_mad_co_u64_u32 v[42:43], null, s9, v51, v[18:19]
	v_lshlrev_b64_e32 v[43:44], 4, v[46:47]
	v_mov_b32_e32 v37, v21
	v_add_co_u32 v21, s0, v16, v22
	s_wait_alu 0xf1ff
	v_add_co_ci_u32_e64 v22, s0, v17, v23, s0
	v_mov_b32_e32 v49, v42
	v_lshlrev_b64_e32 v[36:37], 4, v[36:37]
	v_add_co_u32 v42, s0, v16, v43
	s_wait_alu 0xf1ff
	v_add_co_ci_u32_e64 v43, s0, v17, v44, s0
	v_lshlrev_b64_e32 v[44:45], 4, v[48:49]
	s_delay_alu instid0(VALU_DEP_4) | instskip(SKIP_2) | instid1(VALU_DEP_3)
	v_add_co_u32 v36, s0, v16, v36
	s_wait_alu 0xf1ff
	v_add_co_ci_u32_e64 v37, s0, v17, v37, s0
	v_add_co_u32 v44, s0, v16, v44
	s_wait_alu 0xf1ff
	v_add_co_ci_u32_e64 v45, s0, v17, v45, s0
	s_clause 0x4
	global_load_b128 v[74:77], v[19:20], off
	global_load_b128 v[66:69], v[21:22], off
	;; [unrolled: 1-line block ×5, first 2 shown]
	v_cmpx_gt_u32_e32 18, v104
	s_cbranch_execz .LBB0_14
; %bb.13:
	v_add_nc_u32_e32 v42, 0x22e, v104
	v_add_nc_u32_e32 v44, 0x34e, v104
	s_delay_alu instid0(VALU_DEP_2) | instskip(NEXT) | instid1(VALU_DEP_2)
	v_mad_co_u64_u32 v[20:21], null, s8, v42, 0
	v_mad_co_u64_u32 v[22:23], null, s8, v44, 0
	s_delay_alu instid0(VALU_DEP_1) | instskip(SKIP_1) | instid1(VALU_DEP_3)
	v_mad_co_u64_u32 v[42:43], null, s9, v42, v[21:22]
	v_add_nc_u32_e32 v36, 0x10e, v104
	v_mad_co_u64_u32 v[43:44], null, s9, v44, v[23:24]
	s_delay_alu instid0(VALU_DEP_3) | instskip(NEXT) | instid1(VALU_DEP_3)
	v_mov_b32_e32 v21, v42
	v_mad_co_u64_u32 v[18:19], null, s8, v36, 0
	s_delay_alu instid0(VALU_DEP_3) | instskip(NEXT) | instid1(VALU_DEP_1)
	v_mov_b32_e32 v23, v43
	v_lshlrev_b64_e32 v[22:23], 4, v[22:23]
	s_delay_alu instid0(VALU_DEP_3) | instskip(SKIP_1) | instid1(VALU_DEP_2)
	v_mad_co_u64_u32 v[36:37], null, s9, v36, v[19:20]
	v_lshlrev_b64_e32 v[20:21], 4, v[20:21]
	v_mov_b32_e32 v19, v36
	s_delay_alu instid0(VALU_DEP_1) | instskip(NEXT) | instid1(VALU_DEP_1)
	v_lshlrev_b64_e32 v[18:19], 4, v[18:19]
	v_add_co_u32 v18, s0, v16, v18
	s_wait_alu 0xf1ff
	s_delay_alu instid0(VALU_DEP_2)
	v_add_co_ci_u32_e64 v19, s0, v17, v19, s0
	v_add_co_u32 v20, s0, v16, v20
	s_wait_alu 0xf1ff
	v_add_co_ci_u32_e64 v21, s0, v17, v21, s0
	v_add_co_u32 v16, s0, v16, v22
	s_wait_alu 0xf1ff
	v_add_co_ci_u32_e64 v17, s0, v17, v23, s0
	s_clause 0x2
	global_load_b128 v[90:93], v[18:19], off
	global_load_b128 v[94:97], v[20:21], off
	;; [unrolled: 1-line block ×3, first 2 shown]
.LBB0_14:
	s_wait_alu 0xfffe
	s_or_b32 exec_lo, exec_lo, s2
	v_dual_mov_b32 v121, v107 :: v_dual_mov_b32 v120, v105
	v_dual_mov_b32 v119, v106 :: v_dual_mov_b32 v118, v108
.LBB0_15:
	s_or_b32 exec_lo, exec_lo, s1
	v_add_f64_e32 v[16:17], v[0:1], v[8:9]
	v_add_f64_e32 v[18:19], v[28:29], v[24:25]
	s_wait_loadcnt 0x6
	v_add_f64_e32 v[20:21], v[32:33], v[58:59]
	s_wait_loadcnt 0x3
	;; [unrolled: 2-line block ×3, first 2 shown]
	v_add_f64_e32 v[36:37], v[86:87], v[94:95]
	v_add_f64_e32 v[42:43], v[82:83], v[70:71]
	;; [unrolled: 1-line block ×3, first 2 shown]
	v_add_f64_e64 v[46:47], v[2:3], -v[10:11]
	v_add_f64_e32 v[48:49], v[12:13], v[28:29]
	v_add_f64_e32 v[52:53], v[32:33], v[38:39]
	;; [unrolled: 1-line block ×4, first 2 shown]
	v_add_f64_e64 v[102:103], v[34:35], -v[60:61]
	v_add_f64_e64 v[122:123], v[84:85], -v[72:73]
	;; [unrolled: 1-line block ×3, first 2 shown]
	v_add_f64_e32 v[54:55], v[74:75], v[62:63]
	s_mov_b32 s0, 0xe8584caa
	s_mov_b32 s1, 0xbfebb67a
	;; [unrolled: 1-line block ×3, first 2 shown]
	s_wait_alu 0xfffe
	s_mov_b32 s2, s0
	v_mad_i32_i24 v124, v119, 24, 0
	v_fma_f64 v[4:5], v[16:17], -0.5, v[4:5]
	v_fma_f64 v[12:13], v[18:19], -0.5, v[12:13]
	v_add_f64_e64 v[18:19], v[76:77], -v[68:69]
	v_fma_f64 v[20:21], v[20:21], -0.5, v[38:39]
	v_add_f64_e64 v[38:39], v[96:97], -v[88:89]
	v_fma_f64 v[22:23], v[22:23], -0.5, v[62:63]
	v_fma_f64 v[36:37], v[36:37], -0.5, v[90:91]
	;; [unrolled: 1-line block ×3, first 2 shown]
	v_add_f64_e32 v[44:45], v[8:9], v[44:45]
	v_add_f64_e32 v[48:49], v[48:49], v[24:25]
	;; [unrolled: 1-line block ×6, first 2 shown]
	v_fma_f64 v[56:57], v[46:47], s[0:1], v[4:5]
	s_wait_alu 0xfffe
	v_fma_f64 v[4:5], v[46:47], s[2:3], v[4:5]
	v_fma_f64 v[46:47], v[50:51], s[0:1], v[12:13]
	;; [unrolled: 1-line block ×11, first 2 shown]
	v_mad_u32_u24 v13, v104, 24, 0
	v_mad_i32_i24 v12, v118, 24, 0
	v_cmp_gt_u32_e64 s0, 18, v104
	v_mad_i32_i24 v36, v120, 24, 0
	v_mad_i32_i24 v37, v121, 24, 0
	ds_store_2addr_b64 v13, v[44:45], v[56:57] offset1:1
	ds_store_b64 v13, v[4:5] offset:16
	ds_store_2addr_b64 v12, v[48:49], v[46:47] offset1:1
	ds_store_b64 v12, v[50:51] offset:16
	ds_store_2addr_b64 v124, v[52:53], v[90:91] offset1:1
	ds_store_b64 v124, v[20:21] offset:16
	ds_store_2addr_b64 v36, v[54:55], v[102:103] offset1:1
	ds_store_b64 v36, v[125:126] offset:16
	ds_store_2addr_b64 v37, v[62:63], v[78:79] offset1:1
	ds_store_b64 v37, v[22:23] offset:16
	s_and_saveexec_b32 s1, s0
	s_cbranch_execz .LBB0_17
; %bb.16:
	v_add_nc_u32_e32 v4, 0x1950, v13
	ds_store_2addr_b64 v4, v[16:17], v[18:19] offset1:1
	ds_store_b64 v13, v[100:101] offset:6496
.LBB0_17:
	s_wait_alu 0xfffe
	s_or_b32 exec_lo, exec_lo, s1
	v_lshlrev_b32_e32 v4, 4, v104
	v_lshlrev_b32_e32 v117, 4, v118
	global_wb scope:SCOPE_SE
	s_wait_dscnt 0x0
	s_barrier_signal -1
	s_barrier_wait -1
	v_sub_nc_u32_e32 v122, v13, v4
	global_inv scope:SCOPE_SE
	v_sub_nc_u32_e32 v5, v12, v117
	v_mul_i32_i24_e32 v126, 24, v120
	v_mul_i32_i24_e32 v123, 24, v121
	v_add_nc_u32_e32 v20, 0x400, v122
	v_add_nc_u32_e32 v21, 0x800, v122
	v_add_nc_u32_e32 v50, 0xc00, v122
	v_add_nc_u32_e32 v4, 0x1000, v122
	ds_load_2addr_b64 v[36:39], v122 offset1:144
	ds_load_2addr_b64 v[42:45], v20 offset0:70 offset1:160
	ds_load_2addr_b64 v[46:49], v21 offset0:86 offset1:176
	;; [unrolled: 1-line block ×4, first 2 shown]
	ds_load_b64 v[90:91], v5
	ds_load_b64 v[102:103], v122 offset:6192
	v_cmp_gt_u32_e64 s1, 36, v104
	v_lshlrev_b32_e32 v125, 4, v119
	s_delay_alu instid0(VALU_DEP_2)
	s_and_saveexec_b32 s2, s1
	s_cbranch_execz .LBB0_19
; %bb.18:
	v_add_nc_u32_e32 v5, 0x600, v122
	s_delay_alu instid0(VALU_DEP_2)
	v_sub_nc_u32_e32 v62, v124, v125
	ds_load_2addr_b64 v[20:23], v5 offset0:60 offset1:204
	ds_load_2addr_b64 v[16:19], v4 offset0:28 offset1:172
	ds_load_b64 v[62:63], v62
	ds_load_b64 v[100:101], v122 offset:6624
	s_wait_dscnt 0x3
	v_dual_mov_b32 v79, v21 :: v_dual_mov_b32 v78, v20
.LBB0_19:
	s_wait_alu 0xfffe
	s_or_b32 exec_lo, exec_lo, s2
	v_add_f64_e32 v[4:5], v[2:3], v[10:11]
	v_add_f64_e32 v[127:128], v[34:35], v[60:61]
	;; [unrolled: 1-line block ×7, first 2 shown]
	v_add_f64_e64 v[0:1], v[0:1], -v[8:9]
	v_add_f64_e32 v[8:9], v[14:15], v[30:31]
	v_add_f64_e32 v[30:31], v[34:35], v[40:41]
	;; [unrolled: 1-line block ×5, first 2 shown]
	v_add_f64_e64 v[24:25], v[28:29], -v[24:25]
	v_add_f64_e64 v[28:29], v[32:33], -v[58:59]
	s_mov_b32 s2, 0xe8584caa
	s_mov_b32 s3, 0x3febb67a
	;; [unrolled: 1-line block ×3, first 2 shown]
	s_wait_alu 0xfffe
	s_mov_b32 s6, s2
	global_wb scope:SCOPE_SE
	s_wait_dscnt 0x0
	s_barrier_signal -1
	s_barrier_wait -1
	global_inv scope:SCOPE_SE
	v_fma_f64 v[6:7], v[4:5], -0.5, v[6:7]
	v_fma_f64 v[32:33], v[127:128], -0.5, v[40:41]
	v_add_f64_e64 v[40:41], v[74:75], -v[66:67]
	v_fma_f64 v[58:59], v[129:130], -0.5, v[64:65]
	v_add_f64_e64 v[64:65], v[82:83], -v[70:71]
	;; [unrolled: 2-line block ×3, first 2 shown]
	v_fma_f64 v[74:75], v[133:134], -0.5, v[92:93]
	v_fma_f64 v[14:15], v[20:21], -0.5, v[14:15]
	v_add_f64_e32 v[2:3], v[10:11], v[2:3]
	v_add_f64_e32 v[26:27], v[8:9], v[26:27]
	;; [unrolled: 1-line block ×6, first 2 shown]
	v_fma_f64 v[60:61], v[0:1], s[2:3], v[6:7]
	s_wait_alu 0xfffe
	v_fma_f64 v[0:1], v[0:1], s[6:7], v[6:7]
	v_fma_f64 v[72:73], v[28:29], s[2:3], v[32:33]
	;; [unrolled: 1-line block ×11, first 2 shown]
	v_sub_nc_u32_e32 v14, 0, v117
	v_add_nc_u32_e32 v117, 0x10e, v104
	v_add_nc_u32_e32 v15, 0, v126
	;; [unrolled: 1-line block ×3, first 2 shown]
	ds_store_2addr_b64 v13, v[2:3], v[60:61] offset1:1
	ds_store_b64 v13, v[0:1] offset:16
	ds_store_2addr_b64 v12, v[26:27], v[68:69] offset1:1
	ds_store_b64 v12, v[24:25] offset:16
	;; [unrolled: 2-line block ×5, first 2 shown]
	s_and_saveexec_b32 s2, s0
	s_cbranch_execz .LBB0_21
; %bb.20:
	v_mad_u32_u24 v0, v117, 24, 0
	ds_store_2addr_b64 v0, v[4:5], v[6:7] offset1:1
	ds_store_b64 v0, v[58:59] offset:16
.LBB0_21:
	s_wait_alu 0xfffe
	s_or_b32 exec_lo, exec_lo, s2
	v_add_nc_u32_e32 v13, 0x400, v122
	v_add_nc_u32_e32 v15, 0x800, v122
	;; [unrolled: 1-line block ×5, first 2 shown]
	global_wb scope:SCOPE_SE
	s_wait_dscnt 0x0
	s_barrier_signal -1
	s_barrier_wait -1
	global_inv scope:SCOPE_SE
	ds_load_2addr_b64 v[0:3], v122 offset1:144
	ds_load_2addr_b64 v[24:27], v13 offset0:70 offset1:160
	ds_load_2addr_b64 v[12:15], v15 offset0:86 offset1:176
	;; [unrolled: 1-line block ×4, first 2 shown]
	ds_load_b64 v[40:41], v123
	ds_load_b64 v[60:61], v122 offset:6192
	s_and_saveexec_b32 s2, s1
	s_cbranch_execz .LBB0_23
; %bb.22:
	v_add_nc_u32_e32 v4, 0x600, v122
	v_sub_nc_u32_e32 v20, v124, v125
	ds_load_2addr_b64 v[8:11], v4 offset0:60 offset1:204
	ds_load_2addr_b64 v[4:7], v64 offset0:28 offset1:172
	ds_load_b64 v[20:21], v20
	ds_load_b64 v[58:59], v122 offset:6624
.LBB0_23:
	s_wait_alu 0xfffe
	s_or_b32 exec_lo, exec_lo, s2
	v_and_b32_e32 v92, 0xff, v104
	v_and_b32_e32 v64, 0xff, v118
	;; [unrolled: 1-line block ×3, first 2 shown]
	s_mov_b32 s2, 0xe8584caa
	s_mov_b32 s3, 0xbfebb67a
	v_mul_lo_u16 v65, 0xab, v92
	v_mul_lo_u16 v64, 0xab, v64
	s_mov_b32 s7, 0x3febb67a
	s_wait_alu 0xfffe
	s_mov_b32 s6, s2
	v_lshrrev_b16 v97, 9, v65
	v_mul_lo_u16 v65, 0xab, v66
	v_lshrrev_b16 v178, 9, v64
	s_delay_alu instid0(VALU_DEP_3) | instskip(NEXT) | instid1(VALU_DEP_3)
	v_mul_lo_u16 v64, v97, 3
	v_lshrrev_b16 v179, 9, v65
	s_delay_alu instid0(VALU_DEP_3) | instskip(NEXT) | instid1(VALU_DEP_3)
	v_mul_lo_u16 v65, v178, 3
	v_sub_nc_u16 v64, v104, v64
	s_delay_alu instid0(VALU_DEP_3) | instskip(NEXT) | instid1(VALU_DEP_3)
	v_mul_lo_u16 v66, v179, 3
	v_sub_nc_u16 v65, v118, v65
	s_delay_alu instid0(VALU_DEP_3) | instskip(NEXT) | instid1(VALU_DEP_3)
	v_and_b32_e32 v180, 0xff, v64
	v_sub_nc_u16 v64, v119, v66
	s_delay_alu instid0(VALU_DEP_3) | instskip(NEXT) | instid1(VALU_DEP_3)
	v_and_b32_e32 v181, 0xff, v65
	v_mul_u32_u24_e32 v65, 5, v180
	s_delay_alu instid0(VALU_DEP_3) | instskip(NEXT) | instid1(VALU_DEP_3)
	v_and_b32_e32 v182, 0xff, v64
	v_mul_u32_u24_e32 v64, 5, v181
	s_delay_alu instid0(VALU_DEP_3) | instskip(NEXT) | instid1(VALU_DEP_3)
	v_lshlrev_b32_e32 v65, 4, v65
	v_mul_u32_u24_e32 v74, 5, v182
	s_delay_alu instid0(VALU_DEP_3)
	v_lshlrev_b32_e32 v64, 4, v64
	s_clause 0x1
	global_load_b128 v[66:69], v65, s[4:5] offset:32
	global_load_b128 v[70:73], v65, s[4:5] offset:64
	v_lshlrev_b32_e32 v88, 4, v74
	s_clause 0xc
	global_load_b128 v[74:77], v64, s[4:5] offset:64
	global_load_b128 v[80:83], v64, s[4:5] offset:32
	;; [unrolled: 1-line block ×4, first 2 shown]
	global_load_b128 v[124:127], v64, s[4:5]
	global_load_b128 v[128:131], v65, s[4:5]
	;; [unrolled: 1-line block ×3, first 2 shown]
	global_load_b128 v[136:139], v65, s[4:5] offset:16
	global_load_b128 v[140:143], v65, s[4:5] offset:48
	;; [unrolled: 1-line block ×6, first 2 shown]
	global_wb scope:SCOPE_SE
	s_wait_loadcnt_dscnt 0x0
	s_barrier_signal -1
	s_barrier_wait -1
	global_inv scope:SCOPE_SE
	v_mul_f64_e32 v[160:161], v[102:103], v[76:77]
	v_mul_f64_e32 v[162:163], v[54:55], v[82:83]
	;; [unrolled: 1-line block ×17, first 2 shown]
	v_fma_f64 v[32:33], v[32:33], v[80:81], -v[162:163]
	v_fma_f64 v[58:59], v[58:59], v[84:85], -v[164:165]
	v_mul_f64_e32 v[162:163], v[34:35], v[142:143]
	v_mul_f64_e32 v[164:165], v[12:13], v[146:147]
	v_fma_f64 v[102:103], v[102:103], v[74:75], v[76:77]
	v_fma_f64 v[2:3], v[2:3], v[128:129], -v[170:171]
	v_fma_f64 v[64:65], v[14:15], v[66:67], -v[64:65]
	v_fma_f64 v[14:15], v[30:31], v[70:71], -v[88:89]
	v_fma_f64 v[30:31], v[60:61], v[74:75], -v[160:161]
	v_mul_f64_e32 v[88:89], v[4:5], v[95:96]
	v_mul_f64_e32 v[95:96], v[78:79], v[134:135]
	v_fma_f64 v[60:61], v[4:5], v[93:94], -v[166:167]
	v_mul_f64_e32 v[160:161], v[26:27], v[138:139]
	v_mul_f64_e32 v[166:167], v[28:29], v[150:151]
	;; [unrolled: 1-line block ×3, first 2 shown]
	v_fma_f64 v[68:69], v[48:49], v[66:67], v[68:69]
	v_fma_f64 v[176:177], v[52:53], v[70:71], v[72:73]
	;; [unrolled: 1-line block ×3, first 2 shown]
	v_fma_f64 v[4:5], v[24:25], v[124:125], -v[168:169]
	v_fma_f64 v[54:55], v[100:101], v[84:85], v[86:87]
	v_mul_f64_e32 v[80:81], v[44:45], v[138:139]
	v_mul_f64_e32 v[84:85], v[56:57], v[142:143]
	;; [unrolled: 1-line block ×3, first 2 shown]
	v_fma_f64 v[42:43], v[42:43], v[124:125], v[126:127]
	v_fma_f64 v[52:53], v[56:57], v[140:141], v[162:163]
	v_add_f64_e32 v[70:71], v[64:65], v[14:15]
	v_add_f64_e32 v[72:73], v[32:33], v[30:31]
	v_fma_f64 v[66:67], v[16:17], v[93:94], v[88:89]
	v_fma_f64 v[24:25], v[8:9], v[132:133], -v[95:96]
	v_add_f64_e32 v[76:77], v[60:61], v[58:59]
	v_mul_f64_e32 v[88:89], v[50:51], v[150:151]
	v_mul_f64_e32 v[93:94], v[22:23], v[154:155]
	;; [unrolled: 1-line block ×3, first 2 shown]
	v_fma_f64 v[48:49], v[44:45], v[136:137], v[160:161]
	v_fma_f64 v[44:45], v[38:39], v[128:129], v[130:131]
	;; [unrolled: 1-line block ×6, first 2 shown]
	v_add_f64_e32 v[56:57], v[68:69], v[176:177]
	v_add_f64_e64 v[100:101], v[68:69], -v[176:177]
	v_add_f64_e32 v[124:125], v[74:75], v[102:103]
	v_add_f64_e64 v[126:127], v[74:75], -v[102:103]
	v_fma_f64 v[82:83], v[78:79], v[132:133], v[134:135]
	v_fma_f64 v[50:51], v[26:27], v[136:137], -v[80:81]
	v_fma_f64 v[18:19], v[34:35], v[140:141], -v[84:85]
	;; [unrolled: 1-line block ×3, first 2 shown]
	v_add_f64_e64 v[84:85], v[64:65], -v[14:15]
	v_lshlrev_b32_e32 v144, 3, v181
	v_fma_f64 v[70:71], v[70:71], -0.5, v[2:3]
	v_fma_f64 v[72:73], v[72:73], -0.5, v[4:5]
	v_add_f64_e32 v[78:79], v[66:67], v[54:55]
	v_add_f64_e64 v[128:129], v[66:67], -v[54:55]
	v_fma_f64 v[76:77], v[76:77], -0.5, v[24:25]
	v_fma_f64 v[12:13], v[28:29], v[148:149], -v[88:89]
	v_fma_f64 v[26:27], v[10:11], v[152:153], -v[93:94]
	;; [unrolled: 1-line block ×3, first 2 shown]
	v_add_f64_e32 v[28:29], v[48:49], v[52:53]
	v_add_f64_e64 v[95:96], v[32:33], -v[30:31]
	v_add_f64_e32 v[132:133], v[90:91], v[38:39]
	v_add_f64_e32 v[86:87], v[38:39], v[46:47]
	;; [unrolled: 1-line block ×3, first 2 shown]
	v_fma_f64 v[93:94], v[56:57], -0.5, v[44:45]
	v_add_f64_e32 v[44:45], v[44:45], v[68:69]
	v_add_f64_e64 v[130:131], v[50:51], -v[18:19]
	s_wait_alu 0xfffe
	v_fma_f64 v[80:81], v[100:101], s[6:7], v[70:71]
	v_fma_f64 v[56:57], v[100:101], s[2:3], v[70:71]
	v_fma_f64 v[100:101], v[124:125], -0.5, v[42:43]
	v_add_f64_e64 v[124:125], v[60:61], -v[58:59]
	v_fma_f64 v[70:71], v[126:127], s[6:7], v[72:73]
	v_fma_f64 v[72:73], v[126:127], s[2:3], v[72:73]
	v_fma_f64 v[126:127], v[78:79], -0.5, v[82:83]
	v_fma_f64 v[10:11], v[128:129], s[6:7], v[76:77]
	v_fma_f64 v[6:7], v[128:129], s[2:3], v[76:77]
	v_add_f64_e32 v[128:129], v[36:37], v[48:49]
	v_add_f64_e64 v[134:135], v[34:35], -v[12:13]
	v_add_f64_e32 v[42:43], v[42:43], v[74:75]
	v_add_f64_e64 v[136:137], v[26:27], -v[22:23]
	v_fma_f64 v[138:139], v[28:29], -0.5, v[36:37]
	v_fma_f64 v[86:87], v[86:87], -0.5, v[90:91]
	;; [unrolled: 1-line block ×3, first 2 shown]
	v_fma_f64 v[78:79], v[84:85], s[2:3], v[93:94]
	v_fma_f64 v[28:29], v[84:85], s[6:7], v[93:94]
	v_add_f64_e32 v[44:45], v[44:45], v[176:177]
	v_mul_f64_e32 v[84:85], s[2:3], v[80:81]
	v_mul_f64_e32 v[90:91], s[2:3], v[56:57]
	v_fma_f64 v[36:37], v[95:96], s[2:3], v[100:101]
	v_fma_f64 v[68:69], v[95:96], s[6:7], v[100:101]
	v_mul_f64_e32 v[93:94], s[2:3], v[70:71]
	v_mul_f64_e32 v[95:96], s[2:3], v[72:73]
	v_fma_f64 v[74:75], v[124:125], s[2:3], v[126:127]
	v_fma_f64 v[76:77], v[124:125], s[6:7], v[126:127]
	v_mul_f64_e32 v[100:101], s[2:3], v[10:11]
	v_mul_f64_e32 v[124:125], s[2:3], v[6:7]
	v_add_f64_e32 v[126:127], v[128:129], v[52:53]
	v_add_f64_e32 v[128:129], v[132:133], v[46:47]
	;; [unrolled: 1-line block ×3, first 2 shown]
	v_fma_f64 v[102:103], v[130:131], s[2:3], v[138:139]
	v_fma_f64 v[130:131], v[130:131], s[6:7], v[138:139]
	;; [unrolled: 1-line block ×5, first 2 shown]
	v_fma_f64 v[132:133], v[78:79], 0.5, v[84:85]
	v_fma_f64 v[138:139], v[28:29], -0.5, v[90:91]
	v_fma_f64 v[84:85], v[136:137], s[2:3], v[88:89]
	v_fma_f64 v[93:94], v[36:37], 0.5, v[93:94]
	v_fma_f64 v[95:96], v[68:69], -0.5, v[95:96]
	v_fma_f64 v[88:89], v[74:75], 0.5, v[100:101]
	v_fma_f64 v[90:91], v[76:77], -0.5, v[124:125]
	v_add_f64_e32 v[100:101], v[126:127], v[44:45]
	v_add_f64_e64 v[124:125], v[126:127], -v[44:45]
	v_add_f64_e32 v[126:127], v[128:129], v[42:43]
	v_add_f64_e64 v[128:129], v[128:129], -v[42:43]
	v_add_f64_e32 v[136:137], v[102:103], v[132:133]
	v_add_f64_e32 v[142:143], v[130:131], v[138:139]
	v_add_f64_e64 v[102:103], v[102:103], -v[132:133]
	v_add_f64_e64 v[130:131], v[130:131], -v[138:139]
	v_add_f64_e32 v[132:133], v[140:141], v[93:94]
	v_add_f64_e32 v[138:139], v[134:135], v[95:96]
	v_add_f64_e64 v[140:141], v[140:141], -v[93:94]
	v_add_f64_e64 v[134:135], v[134:135], -v[95:96]
	;; [unrolled: 1-line block ×4, first 2 shown]
	v_and_b32_e32 v93, 0xffff, v97
	v_and_b32_e32 v94, 0xffff, v178
	v_lshlrev_b32_e32 v96, 3, v180
	s_delay_alu instid0(VALU_DEP_3) | instskip(NEXT) | instid1(VALU_DEP_3)
	v_mul_u32_u24_e32 v95, 0x90, v93
	v_mul_u32_u24_e32 v97, 0x90, v94
	v_and_b32_e32 v93, 0xffff, v179
	v_lshlrev_b32_e32 v94, 3, v182
	s_delay_alu instid0(VALU_DEP_4) | instskip(NEXT) | instid1(VALU_DEP_4)
	v_add3_u32 v96, 0, v95, v96
	v_add3_u32 v95, 0, v97, v144
	ds_store_2addr_b64 v96, v[100:101], v[136:137] offset1:3
	ds_store_2addr_b64 v96, v[142:143], v[124:125] offset0:6 offset1:9
	ds_store_2addr_b64 v96, v[102:103], v[130:131] offset0:12 offset1:15
	ds_store_2addr_b64 v95, v[126:127], v[132:133] offset1:3
	ds_store_2addr_b64 v95, v[138:139], v[128:129] offset0:6 offset1:9
	ds_store_2addr_b64 v95, v[140:141], v[134:135] offset0:12 offset1:15
	s_and_saveexec_b32 s12, s1
	s_cbranch_execz .LBB0_25
; %bb.24:
	v_add_f64_e32 v[62:63], v[62:63], v[8:9]
	v_add_f64_e32 v[66:67], v[82:83], v[66:67]
	;; [unrolled: 1-line block ×3, first 2 shown]
	s_delay_alu instid0(VALU_DEP_3) | instskip(NEXT) | instid1(VALU_DEP_3)
	v_add_f64_e32 v[62:63], v[62:63], v[16:17]
	v_add_f64_e32 v[54:55], v[66:67], v[54:55]
	;; [unrolled: 1-line block ×3, first 2 shown]
	s_delay_alu instid0(VALU_DEP_2) | instskip(SKIP_2) | instid1(VALU_DEP_1)
	v_add_f64_e32 v[84:85], v[62:63], v[54:55]
	v_add_f64_e64 v[54:55], v[62:63], -v[54:55]
	v_mul_u32_u24_e32 v62, 0x90, v93
	v_add3_u32 v62, 0, v62, v94
	ds_store_2addr_b64 v62, v[84:85], v[82:83] offset1:3
	ds_store_2addr_b64 v62, v[66:67], v[54:55] offset0:6 offset1:9
	ds_store_2addr_b64 v62, v[42:43], v[44:45] offset0:12 offset1:15
.LBB0_25:
	s_or_b32 exec_lo, exec_lo, s12
	v_add_f64_e32 v[54:55], v[50:51], v[18:19]
	v_add_f64_e32 v[62:63], v[34:35], v[12:13]
	;; [unrolled: 1-line block ×4, first 2 shown]
	v_add_f64_e64 v[48:49], v[48:49], -v[52:53]
	v_add_f64_e32 v[2:3], v[2:3], v[64:65]
	v_mul_f64_e32 v[52:53], 0.5, v[80:81]
	v_add_f64_e32 v[34:35], v[40:41], v[34:35]
	v_add_f64_e32 v[4:5], v[4:5], v[32:33]
	v_mul_f64_e32 v[32:33], -0.5, v[56:57]
	v_add_f64_e64 v[38:39], v[38:39], -v[46:47]
	v_mul_f64_e32 v[46:47], 0.5, v[70:71]
	v_add_f64_e64 v[8:9], v[8:9], -v[16:17]
	v_mul_f64_e32 v[10:11], 0.5, v[10:11]
	v_mul_f64_e32 v[6:7], -0.5, v[6:7]
	v_lshl_add_u32 v103, v119, 3, 0
	v_lshl_add_u32 v124, v120, 3, 0
	;; [unrolled: 1-line block ×3, first 2 shown]
	global_wb scope:SCOPE_SE
	s_wait_dscnt 0x0
	s_barrier_signal -1
	s_barrier_wait -1
	global_inv scope:SCOPE_SE
	v_lshl_add_u32 v102, v104, 3, 0
	v_add_nc_u32_e32 v56, 0x800, v122
	v_add_nc_u32_e32 v126, 0x1000, v122
	;; [unrolled: 1-line block ×3, first 2 shown]
	v_fma_f64 v[0:1], v[54:55], -0.5, v[0:1]
	v_mul_f64_e32 v[54:55], -0.5, v[72:73]
	v_fma_f64 v[40:41], v[62:63], -0.5, v[40:41]
	v_fma_f64 v[16:17], v[66:67], -0.5, v[20:21]
	v_add_f64_e32 v[18:19], v[50:51], v[18:19]
	v_add_f64_e32 v[2:3], v[2:3], v[14:15]
	v_fma_f64 v[14:15], v[78:79], s[6:7], v[52:53]
	v_add_f64_e32 v[12:13], v[34:35], v[12:13]
	v_add_f64_e32 v[4:5], v[4:5], v[30:31]
	v_fma_f64 v[30:31], v[28:29], s[6:7], v[32:33]
	v_fma_f64 v[34:35], v[36:37], s[6:7], v[46:47]
	;; [unrolled: 1-line block ×11, first 2 shown]
	v_add_f64_e32 v[62:63], v[18:19], v[2:3]
	v_add_f64_e64 v[64:65], v[18:19], -v[2:3]
	v_add_f64_e32 v[66:67], v[12:13], v[4:5]
	v_add_f64_e64 v[68:69], v[12:13], -v[4:5]
	;; [unrolled: 2-line block ×4, first 2 shown]
	v_add_f64_e64 v[46:47], v[52:53], -v[28:29]
	v_add_f64_e64 v[48:49], v[54:55], -v[50:51]
	v_add_f64_e32 v[72:73], v[0:1], v[30:31]
	v_add_f64_e64 v[76:77], v[0:1], -v[30:31]
	v_add_f64_e32 v[80:81], v[38:39], v[36:37]
	v_add_f64_e64 v[84:85], v[38:39], -v[36:37]
	ds_load_b64 v[30:31], v122
	ds_load_b64 v[38:39], v103
	;; [unrolled: 1-line block ×5, first 2 shown]
	ds_load_b64 v[32:33], v102 offset:2160
	ds_load_2addr_b64 v[4:7], v56 offset0:68 offset1:122
	ds_load_2addr_b64 v[0:3], v56 offset0:176 offset1:230
	;; [unrolled: 1-line block ×5, first 2 shown]
	global_wb scope:SCOPE_SE
	s_wait_dscnt 0x0
	s_barrier_signal -1
	s_barrier_wait -1
	global_inv scope:SCOPE_SE
	ds_store_2addr_b64 v96, v[62:63], v[70:71] offset1:3
	ds_store_2addr_b64 v96, v[72:73], v[64:65] offset0:6 offset1:9
	ds_store_2addr_b64 v96, v[74:75], v[76:77] offset0:12 offset1:15
	ds_store_2addr_b64 v95, v[66:67], v[78:79] offset1:3
	ds_store_2addr_b64 v95, v[80:81], v[68:69] offset0:6 offset1:9
	ds_store_2addr_b64 v95, v[82:83], v[84:85] offset0:12 offset1:15
	s_and_saveexec_b32 s2, s1
	s_cbranch_execz .LBB0_27
; %bb.26:
	v_add_f64_e32 v[20:21], v[20:21], v[26:27]
	v_add_f64_e32 v[24:25], v[24:25], v[60:61]
	;; [unrolled: 1-line block ×3, first 2 shown]
	s_delay_alu instid0(VALU_DEP_3) | instskip(NEXT) | instid1(VALU_DEP_3)
	v_add_f64_e32 v[20:21], v[20:21], v[22:23]
	v_add_f64_e32 v[22:23], v[24:25], v[58:59]
	;; [unrolled: 1-line block ×3, first 2 shown]
	s_delay_alu instid0(VALU_DEP_2) | instskip(SKIP_2) | instid1(VALU_DEP_1)
	v_add_f64_e32 v[28:29], v[20:21], v[22:23]
	v_add_f64_e64 v[20:21], v[20:21], -v[22:23]
	v_mul_u32_u24_e32 v22, 0x90, v93
	v_add3_u32 v22, 0, v22, v94
	ds_store_2addr_b64 v22, v[28:29], v[24:25] offset1:3
	ds_store_2addr_b64 v22, v[26:27], v[20:21] offset0:6 offset1:9
	ds_store_2addr_b64 v22, v[46:47], v[48:49] offset0:12 offset1:15
.LBB0_27:
	s_wait_alu 0xfffe
	s_or_b32 exec_lo, exec_lo, s2
	v_mul_lo_u16 v20, v92, 57
	global_wb scope:SCOPE_SE
	s_wait_dscnt 0x0
	s_barrier_signal -1
	s_barrier_wait -1
	global_inv scope:SCOPE_SE
	v_lshrrev_b16 v20, 10, v20
	s_mov_b32 s16, 0x667f3bcd
	s_mov_b32 s17, 0x3fe6a09e
	;; [unrolled: 1-line block ×3, first 2 shown]
	s_wait_alu 0xfffe
	s_mov_b32 s18, s16
	v_mul_lo_u16 v21, v20, 18
	s_mov_b32 s2, 0xcf328d46
	s_mov_b32 s3, 0xbfed906b
	;; [unrolled: 1-line block ×3, first 2 shown]
	s_wait_alu 0xfffe
	s_mov_b32 s14, s2
	v_sub_nc_u16 v21, v104, v21
	s_mov_b32 s12, 0xa6aea964
	s_mov_b32 s13, 0x3fd87de2
	;; [unrolled: 1-line block ×4, first 2 shown]
	v_and_b32_e32 v21, 0xff, v21
	v_and_b32_e32 v20, 0xffff, v20
	s_delay_alu instid0(VALU_DEP_2) | instskip(NEXT) | instid1(VALU_DEP_2)
	v_mul_u32_u24_e32 v22, 15, v21
	v_mul_u32_u24_e32 v20, 0x120, v20
	s_delay_alu instid0(VALU_DEP_2) | instskip(NEXT) | instid1(VALU_DEP_2)
	v_lshlrev_b32_e32 v26, 4, v22
	v_or_b32_e32 v20, v20, v21
	s_clause 0xe
	global_load_b128 v[50:53], v26, s[4:5] offset:320
	global_load_b128 v[58:61], v26, s[4:5] offset:336
	;; [unrolled: 1-line block ×15, first 2 shown]
	ds_load_b64 v[54:55], v123
	ds_load_b64 v[96:97], v103
	ds_load_2addr_b64 v[143:146], v126 offset0:28 offset1:82
	ds_load_2addr_b64 v[26:29], v56 offset0:176 offset1:230
	ds_load_b64 v[100:101], v124
	ds_load_2addr_b64 v[147:150], v56 offset0:68 offset1:122
	ds_load_2addr_b64 v[151:154], v126 offset0:136 offset1:190
	;; [unrolled: 1-line block ×3, first 2 shown]
	ds_load_b64 v[163:164], v125
	ds_load_b64 v[165:166], v102 offset:2160
	ds_load_b64 v[62:63], v122
	global_wb scope:SCOPE_SE
	s_wait_loadcnt_dscnt 0x0
	s_barrier_signal -1
	s_barrier_wait -1
	global_inv scope:SCOPE_SE
	v_mul_f64_e32 v[159:160], v[4:5], v[52:53]
	v_mul_f64_e32 v[161:162], v[6:7], v[60:61]
	;; [unrolled: 1-line block ×29, first 2 shown]
	v_fma_f64 v[147:148], v[147:148], v[50:51], -v[159:160]
	v_fma_f64 v[149:150], v[149:150], v[58:59], -v[161:162]
	v_fma_f64 v[40:41], v[40:41], v[64:65], v[167:168]
	v_fma_f64 v[159:160], v[38:39], v[68:69], v[169:170]
	v_fma_f64 v[16:17], v[16:17], v[72:73], v[171:172]
	v_fma_f64 v[18:19], v[18:19], v[76:77], v[173:174]
	v_fma_f64 v[151:152], v[151:152], v[80:81], -v[175:176]
	v_fma_f64 v[161:162], v[0:1], v[22:23], v[177:178]
	v_fma_f64 v[38:39], v[163:164], v[84:85], -v[179:180]
	v_fma_f64 v[153:154], v[153:154], v[88:89], -v[181:182]
	;; [unrolled: 1-line block ×3, first 2 shown]
	v_fma_f64 v[2:3], v[2:3], v[127:128], v[185:186]
	v_fma_f64 v[163:164], v[165:166], v[131:132], -v[187:188]
	v_fma_f64 v[36:37], v[36:37], v[135:136], v[189:190]
	v_fma_f64 v[157:158], v[157:158], v[139:140], -v[191:192]
	v_fma_f64 v[54:55], v[54:55], v[64:65], -v[66:67]
	v_fma_f64 v[64:65], v[96:97], v[68:69], -v[70:71]
	v_fma_f64 v[66:67], v[100:101], v[135:136], -v[137:138]
	v_fma_f64 v[4:5], v[4:5], v[50:51], v[52:53]
	v_fma_f64 v[6:7], v[6:7], v[58:59], v[60:61]
	v_fma_f64 v[50:51], v[143:144], v[72:73], -v[74:75]
	v_fma_f64 v[60:61], v[145:146], v[76:77], -v[78:79]
	v_fma_f64 v[12:13], v[12:13], v[80:81], v[82:83]
	v_fma_f64 v[14:15], v[14:15], v[88:89], v[90:91]
	;; [unrolled: 1-line block ×6, first 2 shown]
	v_fma_f64 v[58:59], v[28:29], v[127:128], -v[129:130]
	v_add_f64_e64 v[16:17], v[159:160], -v[16:17]
	v_add_f64_e64 v[68:69], v[30:31], -v[161:162]
	;; [unrolled: 1-line block ×15, first 2 shown]
	v_fma_f64 v[82:83], v[159:160], 2.0, -v[16:17]
	v_fma_f64 v[80:81], v[30:31], 2.0, -v[68:69]
	v_add_f64_e32 v[60:61], v[68:69], v[28:29]
	v_add_f64_e32 v[84:85], v[16:17], v[70:71]
	v_fma_f64 v[40:41], v[40:41], 2.0, -v[2:3]
	v_add_f64_e32 v[76:77], v[2:3], v[72:73]
	v_fma_f64 v[36:37], v[36:37], 2.0, -v[18:19]
	;; [unrolled: 2-line block ×3, first 2 shown]
	v_fma_f64 v[4:5], v[4:5], 2.0, -v[8:9]
	v_fma_f64 v[34:35], v[34:35], 2.0, -v[32:33]
	;; [unrolled: 1-line block ×5, first 2 shown]
	v_add_f64_e64 v[8:9], v[12:13], -v[8:9]
	v_fma_f64 v[66:67], v[66:67], 2.0, -v[50:51]
	v_add_f64_e64 v[14:15], v[58:59], -v[14:15]
	v_fma_f64 v[6:7], v[6:7], 2.0, -v[10:11]
	;; [unrolled: 2-line block ×3, first 2 shown]
	v_fma_f64 v[88:89], v[68:69], 2.0, -v[60:61]
	v_fma_f64 v[68:69], v[163:164], 2.0, -v[72:73]
	v_fma_f64 v[16:17], v[16:17], 2.0, -v[84:85]
	v_fma_f64 v[2:3], v[2:3], 2.0, -v[76:77]
	v_fma_f64 v[18:19], v[18:19], 2.0, -v[78:79]
	v_add_f64_e64 v[74:75], v[82:83], -v[4:5]
	v_add_f64_e64 v[90:91], v[80:81], -v[34:35]
	v_fma_f64 v[34:35], v[84:85], s[16:17], v[60:61]
	v_add_f64_e64 v[70:71], v[30:31], -v[64:65]
	v_fma_f64 v[64:65], v[78:79], s[16:17], v[76:77]
	v_fma_f64 v[4:5], v[12:13], 2.0, -v[8:9]
	v_add_f64_e64 v[12:13], v[40:41], -v[52:53]
	v_fma_f64 v[52:53], v[58:59], 2.0, -v[14:15]
	v_add_f64_e64 v[6:7], v[36:37], -v[6:7]
	v_add_f64_e64 v[58:59], v[66:67], -v[86:87]
	v_fma_f64 v[50:51], v[50:51], 2.0, -v[10:11]
	v_fma_f64 v[94:95], v[10:11], s[16:17], v[14:15]
	v_add_f64_e64 v[92:93], v[54:55], -v[68:69]
	v_fma_f64 v[72:73], v[16:17], s[18:19], v[88:89]
	v_fma_f64 v[86:87], v[18:19], s[18:19], v[2:3]
	v_fma_f64 v[96:97], v[80:81], 2.0, -v[90:91]
	v_fma_f64 v[80:81], v[82:83], 2.0, -v[74:75]
	v_add_f64_e32 v[100:101], v[90:91], v[70:71]
	v_fma_f64 v[127:128], v[8:9], s[16:17], v[34:35]
	v_fma_f64 v[82:83], v[40:41], 2.0, -v[12:13]
	v_fma_f64 v[40:41], v[36:37], 2.0, -v[6:7]
	v_add_f64_e32 v[130:131], v[12:13], v[58:59]
	v_fma_f64 v[36:37], v[10:11], s[16:17], v[64:65]
	v_fma_f64 v[10:11], v[50:51], s[18:19], v[52:53]
	v_add_f64_e64 v[6:7], v[92:93], -v[6:7]
	v_fma_f64 v[132:133], v[4:5], s[16:17], v[72:73]
	v_fma_f64 v[72:73], v[78:79], s[18:19], v[94:95]
	v_fma_f64 v[68:69], v[54:55], 2.0, -v[92:93]
	v_fma_f64 v[34:35], v[50:51], s[16:17], v[86:87]
	v_fma_f64 v[50:51], v[66:67], 2.0, -v[58:59]
	v_add_f64_e64 v[54:55], v[96:97], -v[80:81]
	v_fma_f64 v[58:59], v[90:91], 2.0, -v[100:101]
	v_fma_f64 v[60:61], v[60:61], 2.0, -v[127:128]
	v_add_f64_e64 v[40:41], v[82:83], -v[40:41]
	v_fma_f64 v[12:13], v[12:13], 2.0, -v[130:131]
	v_fma_f64 v[66:67], v[76:77], 2.0, -v[36:37]
	v_fma_f64 v[76:77], v[18:19], s[18:19], v[10:11]
	v_fma_f64 v[18:19], v[36:37], s[14:15], v[127:128]
	v_fma_f64 v[10:11], v[88:89], 2.0, -v[132:133]
	v_fma_f64 v[80:81], v[14:15], 2.0, -v[72:73]
	v_fma_f64 v[14:15], v[130:131], s[16:17], v[100:101]
	v_fma_f64 v[64:65], v[2:3], 2.0, -v[34:35]
	v_fma_f64 v[2:3], v[92:93], 2.0, -v[6:7]
	v_add_f64_e64 v[78:79], v[68:69], -v[50:51]
	v_fma_f64 v[94:95], v[34:35], s[12:13], v[132:133]
	v_fma_f64 v[86:87], v[96:97], 2.0, -v[54:55]
	v_mul_f64_e32 v[96:97], s[16:17], v[8:9]
	v_fma_f64 v[88:89], v[82:83], 2.0, -v[40:41]
	v_fma_f64 v[90:91], v[12:13], s[18:19], v[58:59]
	s_wait_alu 0xfffe
	v_fma_f64 v[92:93], v[66:67], s[6:7], v[60:61]
	v_fma_f64 v[82:83], v[52:53], 2.0, -v[76:77]
	v_fma_f64 v[50:51], v[72:73], s[12:13], v[18:19]
	v_fma_f64 v[14:15], v[6:7], s[16:17], v[14:15]
	v_fma_f64 v[52:53], v[64:65], s[2:3], v[10:11]
	v_add_f64_e32 v[18:19], v[54:55], v[78:79]
	v_fma_f64 v[138:139], v[76:77], s[14:15], v[94:95]
	v_mul_f64_e32 v[94:95], s[16:17], v[84:85]
	v_mul_f64_e32 v[84:85], s[16:17], v[12:13]
	v_add_f64_e64 v[140:141], v[86:87], -v[88:89]
	v_fma_f64 v[134:135], v[2:3], s[16:17], v[90:91]
	v_fma_f64 v[136:137], v[80:81], s[14:15], v[92:93]
	v_mul_f64_e32 v[92:93], s[16:17], v[16:17]
	v_fma_f64 v[144:145], v[127:128], 2.0, -v[50:51]
	v_lshl_add_u32 v128, v20, 3, 0
	v_mul_f64_e32 v[90:91], s[16:17], v[6:7]
	v_mul_f64_e32 v[88:89], s[16:17], v[2:3]
	v_add_nc_u32_e32 v127, 0xc00, v122
	s_delay_alu instid0(VALU_DEP_4)
	v_add_nc_u32_e32 v129, 0x400, v128
	v_fma_f64 v[142:143], v[100:101], 2.0, -v[14:15]
	v_mul_f64_e32 v[100:101], s[16:17], v[4:5]
	v_fma_f64 v[52:53], v[82:83], s[12:13], v[52:53]
	v_fma_f64 v[54:55], v[54:55], 2.0, -v[18:19]
	v_fma_f64 v[132:133], v[132:133], 2.0, -v[138:139]
	;; [unrolled: 1-line block ×5, first 2 shown]
	v_mul_f64_e32 v[86:87], s[16:17], v[130:131]
	v_fma_f64 v[10:11], v[10:11], 2.0, -v[52:53]
	ds_store_2addr_b64 v129, v[14:15], v[50:51] offset0:124 offset1:142
	ds_store_2addr_b64 v128, v[142:143], v[144:145] offset0:108 offset1:126
	;; [unrolled: 1-line block ×7, first 2 shown]
	ds_store_2addr_b64 v128, v[146:147], v[10:11] offset1:18
	global_wb scope:SCOPE_SE
	s_wait_dscnt 0x0
	s_barrier_signal -1
	s_barrier_wait -1
	global_inv scope:SCOPE_SE
	ds_load_2addr_b64 v[10:13], v56 offset0:32 offset1:86
	ds_load_2addr_b64 v[14:17], v127 offset0:120 offset1:192
	ds_load_b64 v[52:53], v123
	ds_load_2addr_b64 v[2:5], v126 offset0:118 offset1:172
	ds_load_2addr_b64 v[6:9], v56 offset0:140 offset1:194
	;; [unrolled: 1-line block ×3, first 2 shown]
	ds_load_b64 v[58:59], v122
	ds_load_b64 v[54:55], v103
	;; [unrolled: 1-line block ×4, first 2 shown]
	s_and_saveexec_b32 s1, s0
	s_cbranch_execz .LBB0_29
; %bb.28:
	ds_load_b64 v[42:43], v122 offset:4464
	ds_load_b64 v[50:51], v102 offset:2160
	;; [unrolled: 1-line block ×3, first 2 shown]
.LBB0_29:
	s_wait_alu 0xfffe
	s_or_b32 exec_lo, exec_lo, s1
	v_mul_f64_e32 v[0:1], v[0:1], v[24:25]
	v_fma_f64 v[24:25], v[38:39], 2.0, -v[28:29]
	v_fma_f64 v[30:31], v[30:31], 2.0, -v[70:71]
	;; [unrolled: 1-line block ×3, first 2 shown]
	global_wb scope:SCOPE_SE
	s_wait_dscnt 0x0
	s_barrier_signal -1
	s_barrier_wait -1
	global_inv scope:SCOPE_SE
	v_fma_f64 v[0:1], v[26:27], v[22:23], -v[0:1]
	s_delay_alu instid0(VALU_DEP_1) | instskip(NEXT) | instid1(VALU_DEP_1)
	v_add_f64_e64 v[0:1], v[62:63], -v[0:1]
	v_add_f64_e64 v[22:23], v[0:1], -v[32:33]
	v_fma_f64 v[26:27], v[62:63], 2.0, -v[0:1]
	s_delay_alu instid0(VALU_DEP_2) | instskip(NEXT) | instid1(VALU_DEP_2)
	v_fma_f64 v[0:1], v[0:1], 2.0, -v[22:23]
	v_add_f64_e64 v[24:25], v[26:27], -v[24:25]
	v_add_f64_e32 v[28:29], v[22:23], v[96:97]
	s_delay_alu instid0(VALU_DEP_3) | instskip(NEXT) | instid1(VALU_DEP_3)
	v_add_f64_e64 v[32:33], v[0:1], -v[100:101]
	v_add_f64_e64 v[38:39], v[24:25], -v[74:75]
	s_delay_alu instid0(VALU_DEP_3) | instskip(SKIP_1) | instid1(VALU_DEP_4)
	v_add_f64_e64 v[28:29], v[28:29], -v[94:95]
	v_fma_f64 v[26:27], v[26:27], 2.0, -v[24:25]
	v_add_f64_e64 v[32:33], v[32:33], -v[92:93]
	s_delay_alu instid0(VALU_DEP_4) | instskip(NEXT) | instid1(VALU_DEP_4)
	v_fma_f64 v[24:25], v[24:25], 2.0, -v[38:39]
	v_fma_f64 v[22:23], v[22:23], 2.0, -v[28:29]
	s_delay_alu instid0(VALU_DEP_4)
	v_add_f64_e64 v[30:31], v[26:27], -v[30:31]
	v_fma_f64 v[70:71], v[72:73], s[14:15], v[28:29]
	v_fma_f64 v[62:63], v[0:1], 2.0, -v[32:33]
	v_add_f64_e32 v[0:1], v[38:39], v[90:91]
	v_add_f64_e64 v[72:73], v[24:25], -v[88:89]
	v_fma_f64 v[74:75], v[80:81], s[6:7], v[22:23]
	v_fma_f64 v[76:77], v[76:77], s[12:13], v[32:33]
	v_fma_f64 v[26:27], v[26:27], 2.0, -v[30:31]
	v_fma_f64 v[78:79], v[82:83], s[2:3], v[62:63]
	v_add_f64_e64 v[80:81], v[0:1], -v[86:87]
	v_fma_f64 v[0:1], v[36:37], s[6:7], v[70:71]
	v_add_f64_e64 v[36:37], v[30:31], -v[40:41]
	v_add_f64_e64 v[40:41], v[72:73], -v[84:85]
	v_fma_f64 v[66:67], v[66:67], s[2:3], v[74:75]
	v_fma_f64 v[34:35], v[34:35], s[2:3], v[76:77]
	v_add_f64_e64 v[68:69], v[26:27], -v[68:69]
	v_add_nc_u32_e32 v70, 0x800, v122
	v_add_nc_u32_e32 v71, 0x1000, v122
	;; [unrolled: 1-line block ×3, first 2 shown]
	v_fma_f64 v[64:65], v[64:65], s[6:7], v[78:79]
	v_fma_f64 v[38:39], v[38:39], 2.0, -v[80:81]
	v_fma_f64 v[28:29], v[28:29], 2.0, -v[0:1]
	;; [unrolled: 1-line block ×8, first 2 shown]
	ds_store_2addr_b64 v129, v[80:81], v[0:1] offset0:124 offset1:142
	ds_store_2addr_b64 v128, v[38:39], v[28:29] offset0:108 offset1:126
	;; [unrolled: 1-line block ×7, first 2 shown]
	ds_store_2addr_b64 v128, v[26:27], v[62:63] offset1:18
	global_wb scope:SCOPE_SE
	s_wait_dscnt 0x0
	s_barrier_signal -1
	s_barrier_wait -1
	global_inv scope:SCOPE_SE
	ds_load_2addr_b64 v[22:25], v70 offset0:32 offset1:86
	ds_load_2addr_b64 v[26:29], v127 offset0:120 offset1:192
	ds_load_b64 v[64:65], v123
	ds_load_2addr_b64 v[30:33], v71 offset0:118 offset1:172
	ds_load_2addr_b64 v[34:37], v70 offset0:140 offset1:194
	;; [unrolled: 1-line block ×3, first 2 shown]
	ds_load_b64 v[66:67], v122
	ds_load_b64 v[68:69], v103
	;; [unrolled: 1-line block ×4, first 2 shown]
	s_and_saveexec_b32 s1, s0
	s_cbranch_execz .LBB0_31
; %bb.30:
	ds_load_b64 v[46:47], v122 offset:4464
	ds_load_b64 v[0:1], v102 offset:2160
	;; [unrolled: 1-line block ×3, first 2 shown]
.LBB0_31:
	s_wait_alu 0xfffe
	s_or_b32 exec_lo, exec_lo, s1
	s_and_saveexec_b32 s1, vcc_lo
	s_cbranch_execz .LBB0_34
; %bb.32:
	v_dual_mov_b32 v63, 0 :: v_dual_lshlrev_b32 v62, 1, v121
	v_mad_co_u64_u32 v[134:135], null, s8, v116, 0
	v_mad_co_u64_u32 v[136:137], null, s8, v108, 0
	s_delay_alu instid0(VALU_DEP_3) | instskip(SKIP_4) | instid1(VALU_DEP_4)
	v_lshlrev_b64_e32 v[74:75], 4, v[62:63]
	v_lshlrev_b32_e32 v62, 1, v120
	v_mad_co_u64_u32 v[138:139], null, s8, v113, 0
	v_mul_hi_u32 v154, 0x38e38e39, v107
	v_mad_co_u64_u32 v[140:141], null, s8, v114, 0
	v_lshlrev_b64_e32 v[84:85], 4, v[62:63]
	v_lshlrev_b32_e32 v62, 1, v119
	v_add_co_u32 v74, vcc_lo, s4, v74
	s_wait_alu 0xfffd
	v_add_co_ci_u32_e32 v75, vcc_lo, s5, v75, vcc_lo
	s_delay_alu instid0(VALU_DEP_3)
	v_lshlrev_b64_e32 v[86:87], 4, v[62:63]
	v_lshlrev_b32_e32 v62, 1, v118
	s_clause 0x1
	global_load_b128 v[76:79], v[74:75], off offset:4576
	global_load_b128 v[80:83], v[74:75], off offset:4560
	v_add_co_u32 v74, vcc_lo, s4, v84
	s_wait_alu 0xfffd
	v_add_co_ci_u32_e32 v75, vcc_lo, s5, v85, vcc_lo
	v_add_co_u32 v96, vcc_lo, s4, v86
	v_lshlrev_b64_e32 v[118:119], 4, v[62:63]
	v_lshlrev_b32_e32 v62, 1, v104
	s_wait_alu 0xfffd
	v_add_co_ci_u32_e32 v97, vcc_lo, s5, v87, vcc_lo
	s_clause 0x3
	global_load_b128 v[84:87], v[74:75], off offset:4576
	global_load_b128 v[88:91], v[74:75], off offset:4560
	;; [unrolled: 1-line block ×4, first 2 shown]
	v_lshlrev_b64_e32 v[74:75], 4, v[62:63]
	v_add_co_u32 v96, vcc_lo, s4, v118
	s_wait_alu 0xfffd
	v_add_co_ci_u32_e32 v97, vcc_lo, s5, v119, vcc_lo
	v_mad_co_u64_u32 v[142:143], null, s8, v106, 0
	s_delay_alu instid0(VALU_DEP_4)
	v_add_co_u32 v74, vcc_lo, s4, v74
	s_wait_alu 0xfffd
	v_add_co_ci_u32_e32 v75, vcc_lo, s5, v75, vcc_lo
	s_clause 0x3
	global_load_b128 v[118:121], v[96:97], off offset:4560
	global_load_b128 v[122:125], v[96:97], off offset:4576
	global_load_b128 v[126:129], v[74:75], off offset:4560
	global_load_b128 v[130:133], v[74:75], off offset:4576
	v_mad_co_u64_u32 v[96:97], null, s8, v104, 0
	v_add_co_u32 v74, vcc_lo, s10, v98
	s_wait_alu 0xfffd
	v_add_co_ci_u32_e32 v75, vcc_lo, s11, v99, vcc_lo
	v_mad_co_u64_u32 v[98:99], null, s8, v115, 0
	v_mad_co_u64_u32 v[144:145], null, s8, v111, 0
	;; [unrolled: 1-line block ×6, first 2 shown]
	v_mov_b32_e32 v62, v97
	v_lshrrev_b32_e32 v160, 6, v154
	v_mov_b32_e32 v97, v99
	v_mov_b32_e32 v99, v135
	;; [unrolled: 1-line block ×11, first 2 shown]
	v_mad_co_u64_u32 v[153:154], null, s9, v104, v[62:63]
	v_mad_u32_u24 v62, 0x240, v160, v107
	v_mad_co_u64_u32 v[154:155], null, s9, v115, v[97:98]
	v_mad_co_u64_u32 v[155:156], null, s9, v108, v[135:136]
	v_mad_co_u64_u32 v[156:157], null, s9, v113, v[137:138]
	s_delay_alu instid0(VALU_DEP_4)
	v_add_nc_u32_e32 v170, 0x120, v62
	v_mad_co_u64_u32 v[157:158], null, s9, v106, v[141:142]
	v_mad_co_u64_u32 v[113:114], null, s9, v114, v[139:140]
	;; [unrolled: 1-line block ×7, first 2 shown]
	v_mov_b32_e32 v137, v155
	v_mov_b32_e32 v141, v113
	;; [unrolled: 1-line block ×7, first 2 shown]
	v_mad_co_u64_u32 v[108:109], null, s8, v62, 0
	v_mov_b32_e32 v149, v105
	v_mov_b32_e32 v151, v106
	s_delay_alu instid0(VALU_DEP_4)
	v_lshlrev_b64_e32 v[96:97], 4, v[96:97]
	v_mad_co_u64_u32 v[105:106], null, s8, v170, 0
	v_mov_b32_e32 v153, v107
	v_lshlrev_b64_e32 v[136:137], 4, v[136:137]
	v_lshlrev_b64_e32 v[138:139], 4, v[138:139]
	;; [unrolled: 1-line block ×5, first 2 shown]
	v_add_nc_u32_e32 v171, 0x240, v62
	v_lshlrev_b64_e32 v[146:147], 4, v[146:147]
	v_lshlrev_b64_e32 v[148:149], 4, v[148:149]
	s_mov_b32 s2, 0xe8584caa
	s_mov_b32 s3, 0xbfebb67a
	v_mad_co_u64_u32 v[168:169], null, s8, v171, 0
	s_mov_b32 s7, 0x3febb67a
	s_wait_alu 0xfffe
	s_mov_b32 s6, s2
	v_lshlrev_b64_e32 v[150:151], 4, v[150:151]
	s_wait_loadcnt 0x9
	v_mul_f64_e32 v[112:113], v[20:21], v[78:79]
	s_wait_loadcnt 0x8
	v_mul_f64_e32 v[110:111], v[14:15], v[82:83]
	s_wait_dscnt 0x8
	v_mul_f64_e32 v[82:83], v[26:27], v[82:83]
	s_wait_dscnt 0x4
	v_mul_f64_e32 v[78:79], v[40:41], v[78:79]
	s_wait_loadcnt 0x5
	v_mul_f64_e32 v[158:159], v[4:5], v[94:95]
	s_wait_loadcnt 0x4
	v_mad_co_u64_u32 v[115:116], null, s9, v116, v[99:100]
	v_mov_b32_e32 v99, v154
	v_mul_f64_e32 v[154:155], v[18:19], v[86:87]
	v_mul_f64_e32 v[86:87], v[38:39], v[86:87]
	;; [unrolled: 1-line block ×5, first 2 shown]
	v_mov_b32_e32 v135, v115
	v_mul_f64_e32 v[114:115], v[8:9], v[90:91]
	s_wait_loadcnt 0x3
	v_mul_f64_e32 v[160:161], v[12:13], v[120:121]
	s_wait_loadcnt 0x2
	v_mul_f64_e32 v[162:163], v[2:3], v[124:125]
	v_mul_f64_e32 v[124:125], v[30:31], v[124:125]
	s_wait_loadcnt 0x1
	v_mul_f64_e32 v[164:165], v[10:11], v[128:129]
	s_wait_loadcnt 0x0
	v_mul_f64_e32 v[166:167], v[16:17], v[132:133]
	v_mul_f64_e32 v[128:129], v[22:23], v[128:129]
	;; [unrolled: 1-line block ×5, first 2 shown]
	v_lshlrev_b64_e32 v[98:99], 4, v[98:99]
	v_lshlrev_b64_e32 v[134:135], 4, v[134:135]
	v_fma_f64 v[40:41], v[40:41], v[76:77], -v[112:113]
	v_fma_f64 v[26:27], v[26:27], v[80:81], -v[110:111]
	v_fma_f64 v[14:15], v[14:15], v[80:81], v[82:83]
	v_fma_f64 v[20:21], v[20:21], v[76:77], v[78:79]
	v_add_co_u32 v82, vcc_lo, v74, v96
	s_wait_alu 0xfffd
	v_add_co_ci_u32_e32 v83, vcc_lo, v75, v97, vcc_lo
	v_lshlrev_b64_e32 v[80:81], 4, v[152:153]
	v_fma_f64 v[32:33], v[32:33], v[92:93], -v[158:159]
	v_fma_f64 v[38:39], v[38:39], v[84:85], -v[154:155]
	;; [unrolled: 1-line block ×3, first 2 shown]
	v_fma_f64 v[6:7], v[6:7], v[100:101], v[102:103]
	v_fma_f64 v[78:79], v[4:5], v[92:93], v[94:95]
	v_fma_f64 v[36:37], v[36:37], v[88:89], -v[114:115]
	v_fma_f64 v[24:25], v[24:25], v[118:119], -v[160:161]
	;; [unrolled: 1-line block ×3, first 2 shown]
	v_fma_f64 v[76:77], v[2:3], v[122:123], v[124:125]
	v_fma_f64 v[2:3], v[22:23], v[126:127], -v[164:165]
	v_fma_f64 v[22:23], v[28:29], v[130:131], -v[166:167]
	v_fma_f64 v[10:11], v[10:11], v[126:127], v[128:129]
	v_fma_f64 v[28:29], v[16:17], v[130:131], v[132:133]
	;; [unrolled: 1-line block ×5, first 2 shown]
	v_mov_b32_e32 v16, v109
	v_add_co_u32 v84, vcc_lo, v74, v98
	s_wait_alu 0xfffd
	v_add_co_ci_u32_e32 v85, vcc_lo, v75, v99, vcc_lo
	v_add_co_u32 v86, vcc_lo, v74, v134
	v_add_f64_e32 v[90:91], v[26:27], v[40:41]
	v_add_f64_e32 v[94:95], v[14:15], v[20:21]
	s_wait_alu 0xfffd
	v_add_co_ci_u32_e32 v87, vcc_lo, v75, v135, vcc_lo
	v_add_co_u32 v88, vcc_lo, v74, v136
	s_wait_alu 0xfffd
	v_add_co_ci_u32_e32 v89, vcc_lo, v75, v137, vcc_lo
	v_add_co_u32 v92, vcc_lo, v74, v138
	;; [unrolled: 3-line block ×3, first 2 shown]
	s_wait_alu 0xfffd
	v_add_co_ci_u32_e32 v112, vcc_lo, v75, v141, vcc_lo
	v_add_f64_e32 v[98:99], v[34:35], v[32:33]
	v_add_co_u32 v118, vcc_lo, v74, v142
	v_add_f64_e32 v[115:116], v[6:7], v[78:79]
	v_add_f64_e32 v[96:97], v[36:37], v[38:39]
	s_wait_alu 0xfffd
	v_add_co_ci_u32_e32 v119, vcc_lo, v75, v143, vcc_lo
	v_add_f64_e32 v[100:101], v[24:25], v[30:31]
	v_add_co_u32 v120, vcc_lo, v74, v144
	v_add_f64_e32 v[102:103], v[2:3], v[22:23]
	v_add_f64_e32 v[109:110], v[10:11], v[28:29]
	v_mad_co_u64_u32 v[4:5], null, s9, v62, v[16:17]
	v_mov_b32_e32 v5, v106
	v_add_f64_e32 v[106:107], v[12:13], v[76:77]
	v_add_f64_e32 v[113:114], v[8:9], v[17:18]
	s_wait_alu 0xfffd
	v_add_co_ci_u32_e32 v121, vcc_lo, v75, v145, vcc_lo
	v_add_f64_e64 v[122:123], v[14:15], -v[20:21]
	v_add_f64_e32 v[14:15], v[60:61], v[14:15]
	v_add_f64_e32 v[130:131], v[56:57], v[8:9]
	s_wait_dscnt 0x3
	v_add_f64_e32 v[144:145], v[66:67], v[2:3]
	v_add_f64_e32 v[152:153], v[58:59], v[10:11]
	s_wait_dscnt 0x0
	v_add_f64_e32 v[124:125], v[72:73], v[26:27]
	v_add_f64_e32 v[128:129], v[70:71], v[36:37]
	v_fma_f64 v[72:73], v[90:91], -0.5, v[72:73]
	v_add_f64_e64 v[90:91], v[10:11], -v[28:29]
	v_fma_f64 v[60:61], v[94:95], -0.5, v[60:61]
	v_add_f64_e32 v[140:141], v[64:65], v[24:25]
	v_add_f64_e32 v[142:143], v[52:53], v[12:13]
	v_add_f64_e64 v[138:139], v[12:13], -v[76:77]
	v_add_f64_e32 v[134:135], v[68:69], v[34:35]
	v_add_f64_e32 v[136:137], v[54:55], v[6:7]
	v_add_f64_e64 v[132:133], v[6:7], -v[78:79]
	v_add_f64_e64 v[34:35], v[34:35], -v[32:33]
	;; [unrolled: 1-line block ×4, first 2 shown]
	v_fma_f64 v[68:69], v[98:99], -0.5, v[68:69]
	v_add_f64_e64 v[98:99], v[36:37], -v[38:39]
	v_mov_b32_e32 v16, v169
	v_fma_f64 v[94:95], v[96:97], -0.5, v[70:71]
	v_add_f64_e64 v[70:71], v[2:3], -v[22:23]
	v_fma_f64 v[64:65], v[100:101], -0.5, v[64:65]
	v_add_f64_e64 v[100:101], v[24:25], -v[30:31]
	v_mad_co_u64_u32 v[154:155], null, s9, v171, v[16:17]
	v_fma_f64 v[66:67], v[102:103], -0.5, v[66:67]
	v_fma_f64 v[96:97], v[109:110], -0.5, v[58:59]
	v_mov_b32_e32 v109, v4
	v_fma_f64 v[102:103], v[106:107], -0.5, v[52:53]
	v_fma_f64 v[106:107], v[113:114], -0.5, v[56:57]
	;; [unrolled: 1-line block ×3, first 2 shown]
	v_add_co_u32 v115, vcc_lo, v74, v146
	s_wait_alu 0xfffd
	v_add_co_ci_u32_e32 v116, vcc_lo, v75, v147, vcc_lo
	v_add_co_u32 v146, vcc_lo, v74, v148
	s_wait_alu 0xfffd
	v_add_co_ci_u32_e32 v147, vcc_lo, v75, v149, vcc_lo
	v_mad_co_u64_u32 v[148:149], null, s9, v170, v[5:6]
	v_add_f64_e32 v[2:3], v[14:15], v[20:21]
	v_add_f64_e32 v[6:7], v[130:131], v[17:18]
	;; [unrolled: 1-line block ×10, first 2 shown]
	v_fma_f64 v[36:37], v[132:133], s[2:3], v[68:69]
	s_wait_alu 0xfffe
	v_fma_f64 v[28:29], v[122:123], s[6:7], v[72:73]
	v_fma_f64 v[22:23], v[26:27], s[6:7], v[60:61]
	;; [unrolled: 1-line block ×7, first 2 shown]
	v_add_co_u32 v60, vcc_lo, v74, v150
	v_lshlrev_b64_e32 v[72:73], 4, v[108:109]
	v_fma_f64 v[58:59], v[90:91], s[6:7], v[66:67]
	v_fma_f64 v[56:57], v[70:71], s[2:3], v[96:97]
	;; [unrolled: 1-line block ×12, first 2 shown]
	v_dual_mov_b32 v106, v148 :: v_dual_mov_b32 v169, v154
	s_wait_alu 0xfffd
	v_add_co_ci_u32_e32 v61, vcc_lo, v75, v151, vcc_lo
	v_add_co_u32 v80, vcc_lo, v74, v80
	s_delay_alu instid0(VALU_DEP_3)
	v_lshlrev_b64_e32 v[90:91], 4, v[105:106]
	s_wait_alu 0xfffd
	v_add_co_ci_u32_e32 v81, vcc_lo, v75, v81, vcc_lo
	v_lshlrev_b64_e32 v[94:95], 4, v[168:169]
	v_add_co_u32 v72, vcc_lo, v74, v72
	s_wait_alu 0xfffd
	v_add_co_ci_u32_e32 v73, vcc_lo, v75, v73, vcc_lo
	v_add_co_u32 v90, vcc_lo, v74, v90
	s_wait_alu 0xfffd
	v_add_co_ci_u32_e32 v91, vcc_lo, v75, v91, vcc_lo
	;; [unrolled: 3-line block ×3, first 2 shown]
	s_clause 0xe
	global_store_b128 v[82:83], v[18:21], off
	global_store_b128 v[84:85], v[56:59], off
	;; [unrolled: 1-line block ×15, first 2 shown]
	s_and_b32 exec_lo, exec_lo, s0
	s_cbranch_execz .LBB0_34
; %bb.33:
	v_subrev_nc_u32_e32 v2, 18, v104
	v_add_nc_u32_e32 v26, 0x22e, v104
	v_mad_co_u64_u32 v[20:21], null, s8, v117, 0
	s_delay_alu instid0(VALU_DEP_3) | instskip(NEXT) | instid1(VALU_DEP_3)
	v_cndmask_b32_e64 v2, v2, v117, s0
	v_mad_co_u64_u32 v[22:23], null, s8, v26, 0
	v_add_nc_u32_e32 v27, 0x34e, v104
	s_delay_alu instid0(VALU_DEP_1) | instskip(NEXT) | instid1(VALU_DEP_4)
	v_mad_co_u64_u32 v[24:25], null, s8, v27, 0
	v_lshlrev_b32_e32 v62, 1, v2
	s_delay_alu instid0(VALU_DEP_1) | instskip(NEXT) | instid1(VALU_DEP_1)
	v_lshlrev_b64_e32 v[2:3], 4, v[62:63]
	v_add_co_u32 v6, vcc_lo, s4, v2
	s_wait_alu 0xfffd
	s_delay_alu instid0(VALU_DEP_2)
	v_add_co_ci_u32_e32 v7, vcc_lo, s5, v3, vcc_lo
	s_clause 0x1
	global_load_b128 v[2:5], v[6:7], off offset:4560
	global_load_b128 v[6:9], v[6:7], off offset:4576
	s_wait_loadcnt 0x1
	v_mul_f64_e32 v[10:11], v[46:47], v[4:5]
	s_wait_loadcnt 0x0
	v_mul_f64_e32 v[12:13], v[48:49], v[8:9]
	v_mul_f64_e32 v[4:5], v[42:43], v[4:5]
	;; [unrolled: 1-line block ×3, first 2 shown]
	s_delay_alu instid0(VALU_DEP_4) | instskip(NEXT) | instid1(VALU_DEP_4)
	v_fma_f64 v[10:11], v[42:43], v[2:3], v[10:11]
	v_fma_f64 v[12:13], v[44:45], v[6:7], v[12:13]
	s_delay_alu instid0(VALU_DEP_4) | instskip(NEXT) | instid1(VALU_DEP_4)
	v_fma_f64 v[2:3], v[46:47], v[2:3], -v[4:5]
	v_fma_f64 v[4:5], v[48:49], v[6:7], -v[8:9]
	s_delay_alu instid0(VALU_DEP_4) | instskip(NEXT) | instid1(VALU_DEP_4)
	v_add_f64_e32 v[14:15], v[50:51], v[10:11]
	v_add_f64_e32 v[6:7], v[10:11], v[12:13]
	v_add_f64_e64 v[10:11], v[10:11], -v[12:13]
	s_delay_alu instid0(VALU_DEP_4) | instskip(SKIP_3) | instid1(VALU_DEP_4)
	v_add_f64_e32 v[8:9], v[2:3], v[4:5]
	v_add_f64_e64 v[16:17], v[2:3], -v[4:5]
	v_add_f64_e32 v[2:3], v[0:1], v[2:3]
	v_fma_f64 v[6:7], v[6:7], -0.5, v[50:51]
	v_fma_f64 v[18:19], v[8:9], -0.5, v[0:1]
	v_add_f64_e32 v[0:1], v[14:15], v[12:13]
	v_mov_b32_e32 v13, v25
	v_add_f64_e32 v[2:3], v[2:3], v[4:5]
	v_mad_co_u64_u32 v[14:15], null, s9, v117, v[21:22]
	s_delay_alu instid0(VALU_DEP_1)
	v_dual_mov_b32 v12, v23 :: v_dual_mov_b32 v21, v14
	v_fma_f64 v[4:5], v[16:17], s[2:3], v[6:7]
	v_fma_f64 v[8:9], v[16:17], s[6:7], v[6:7]
	;; [unrolled: 1-line block ×4, first 2 shown]
	v_mad_co_u64_u32 v[15:16], null, s9, v26, v[12:13]
	v_mad_co_u64_u32 v[12:13], null, s9, v27, v[13:14]
	s_delay_alu instid0(VALU_DEP_2) | instskip(NEXT) | instid1(VALU_DEP_2)
	v_mov_b32_e32 v23, v15
	v_mov_b32_e32 v25, v12
	v_lshlrev_b64_e32 v[12:13], 4, v[20:21]
	s_delay_alu instid0(VALU_DEP_3) | instskip(NEXT) | instid1(VALU_DEP_3)
	v_lshlrev_b64_e32 v[14:15], 4, v[22:23]
	v_lshlrev_b64_e32 v[16:17], 4, v[24:25]
	s_delay_alu instid0(VALU_DEP_3) | instskip(SKIP_1) | instid1(VALU_DEP_4)
	v_add_co_u32 v12, vcc_lo, v74, v12
	s_wait_alu 0xfffd
	v_add_co_ci_u32_e32 v13, vcc_lo, v75, v13, vcc_lo
	s_delay_alu instid0(VALU_DEP_4)
	v_add_co_u32 v14, vcc_lo, v74, v14
	s_wait_alu 0xfffd
	v_add_co_ci_u32_e32 v15, vcc_lo, v75, v15, vcc_lo
	v_add_co_u32 v16, vcc_lo, v74, v16
	s_wait_alu 0xfffd
	v_add_co_ci_u32_e32 v17, vcc_lo, v75, v17, vcc_lo
	s_clause 0x2
	global_store_b128 v[12:13], v[0:3], off
	global_store_b128 v[14:15], v[4:7], off
	;; [unrolled: 1-line block ×3, first 2 shown]
.LBB0_34:
	s_nop 0
	s_sendmsg sendmsg(MSG_DEALLOC_VGPRS)
	s_endpgm
	.section	.rodata,"a",@progbits
	.p2align	6, 0x0
	.amdhsa_kernel fft_rtc_back_len864_factors_3_6_16_3_wgs_54_tpt_54_halfLds_dp_ip_CI_sbrr_dirReg
		.amdhsa_group_segment_fixed_size 0
		.amdhsa_private_segment_fixed_size 0
		.amdhsa_kernarg_size 88
		.amdhsa_user_sgpr_count 2
		.amdhsa_user_sgpr_dispatch_ptr 0
		.amdhsa_user_sgpr_queue_ptr 0
		.amdhsa_user_sgpr_kernarg_segment_ptr 1
		.amdhsa_user_sgpr_dispatch_id 0
		.amdhsa_user_sgpr_private_segment_size 0
		.amdhsa_wavefront_size32 1
		.amdhsa_uses_dynamic_stack 0
		.amdhsa_enable_private_segment 0
		.amdhsa_system_sgpr_workgroup_id_x 1
		.amdhsa_system_sgpr_workgroup_id_y 0
		.amdhsa_system_sgpr_workgroup_id_z 0
		.amdhsa_system_sgpr_workgroup_info 0
		.amdhsa_system_vgpr_workitem_id 0
		.amdhsa_next_free_vgpr 193
		.amdhsa_next_free_sgpr 35
		.amdhsa_reserve_vcc 1
		.amdhsa_float_round_mode_32 0
		.amdhsa_float_round_mode_16_64 0
		.amdhsa_float_denorm_mode_32 3
		.amdhsa_float_denorm_mode_16_64 3
		.amdhsa_fp16_overflow 0
		.amdhsa_workgroup_processor_mode 1
		.amdhsa_memory_ordered 1
		.amdhsa_forward_progress 0
		.amdhsa_round_robin_scheduling 0
		.amdhsa_exception_fp_ieee_invalid_op 0
		.amdhsa_exception_fp_denorm_src 0
		.amdhsa_exception_fp_ieee_div_zero 0
		.amdhsa_exception_fp_ieee_overflow 0
		.amdhsa_exception_fp_ieee_underflow 0
		.amdhsa_exception_fp_ieee_inexact 0
		.amdhsa_exception_int_div_zero 0
	.end_amdhsa_kernel
	.text
.Lfunc_end0:
	.size	fft_rtc_back_len864_factors_3_6_16_3_wgs_54_tpt_54_halfLds_dp_ip_CI_sbrr_dirReg, .Lfunc_end0-fft_rtc_back_len864_factors_3_6_16_3_wgs_54_tpt_54_halfLds_dp_ip_CI_sbrr_dirReg
                                        ; -- End function
	.section	.AMDGPU.csdata,"",@progbits
; Kernel info:
; codeLenInByte = 11324
; NumSgprs: 37
; NumVgprs: 193
; ScratchSize: 0
; MemoryBound: 1
; FloatMode: 240
; IeeeMode: 1
; LDSByteSize: 0 bytes/workgroup (compile time only)
; SGPRBlocks: 4
; VGPRBlocks: 24
; NumSGPRsForWavesPerEU: 37
; NumVGPRsForWavesPerEU: 193
; Occupancy: 7
; WaveLimiterHint : 1
; COMPUTE_PGM_RSRC2:SCRATCH_EN: 0
; COMPUTE_PGM_RSRC2:USER_SGPR: 2
; COMPUTE_PGM_RSRC2:TRAP_HANDLER: 0
; COMPUTE_PGM_RSRC2:TGID_X_EN: 1
; COMPUTE_PGM_RSRC2:TGID_Y_EN: 0
; COMPUTE_PGM_RSRC2:TGID_Z_EN: 0
; COMPUTE_PGM_RSRC2:TIDIG_COMP_CNT: 0
	.text
	.p2alignl 7, 3214868480
	.fill 96, 4, 3214868480
	.type	__hip_cuid_2364809d099c09d3,@object ; @__hip_cuid_2364809d099c09d3
	.section	.bss,"aw",@nobits
	.globl	__hip_cuid_2364809d099c09d3
__hip_cuid_2364809d099c09d3:
	.byte	0                               ; 0x0
	.size	__hip_cuid_2364809d099c09d3, 1

	.ident	"AMD clang version 19.0.0git (https://github.com/RadeonOpenCompute/llvm-project roc-6.4.0 25133 c7fe45cf4b819c5991fe208aaa96edf142730f1d)"
	.section	".note.GNU-stack","",@progbits
	.addrsig
	.addrsig_sym __hip_cuid_2364809d099c09d3
	.amdgpu_metadata
---
amdhsa.kernels:
  - .args:
      - .actual_access:  read_only
        .address_space:  global
        .offset:         0
        .size:           8
        .value_kind:     global_buffer
      - .offset:         8
        .size:           8
        .value_kind:     by_value
      - .actual_access:  read_only
        .address_space:  global
        .offset:         16
        .size:           8
        .value_kind:     global_buffer
      - .actual_access:  read_only
        .address_space:  global
        .offset:         24
        .size:           8
        .value_kind:     global_buffer
      - .offset:         32
        .size:           8
        .value_kind:     by_value
      - .actual_access:  read_only
        .address_space:  global
        .offset:         40
        .size:           8
        .value_kind:     global_buffer
      - .actual_access:  read_only
        .address_space:  global
        .offset:         48
        .size:           8
        .value_kind:     global_buffer
      - .offset:         56
        .size:           4
        .value_kind:     by_value
      - .actual_access:  read_only
        .address_space:  global
        .offset:         64
        .size:           8
        .value_kind:     global_buffer
      - .actual_access:  read_only
        .address_space:  global
        .offset:         72
        .size:           8
        .value_kind:     global_buffer
      - .address_space:  global
        .offset:         80
        .size:           8
        .value_kind:     global_buffer
    .group_segment_fixed_size: 0
    .kernarg_segment_align: 8
    .kernarg_segment_size: 88
    .language:       OpenCL C
    .language_version:
      - 2
      - 0
    .max_flat_workgroup_size: 54
    .name:           fft_rtc_back_len864_factors_3_6_16_3_wgs_54_tpt_54_halfLds_dp_ip_CI_sbrr_dirReg
    .private_segment_fixed_size: 0
    .sgpr_count:     37
    .sgpr_spill_count: 0
    .symbol:         fft_rtc_back_len864_factors_3_6_16_3_wgs_54_tpt_54_halfLds_dp_ip_CI_sbrr_dirReg.kd
    .uniform_work_group_size: 1
    .uses_dynamic_stack: false
    .vgpr_count:     193
    .vgpr_spill_count: 0
    .wavefront_size: 32
    .workgroup_processor_mode: 1
amdhsa.target:   amdgcn-amd-amdhsa--gfx1201
amdhsa.version:
  - 1
  - 2
...

	.end_amdgpu_metadata
